;; amdgpu-corpus repo=ROCm/rocFFT kind=compiled arch=gfx1201 opt=O3
	.text
	.amdgcn_target "amdgcn-amd-amdhsa--gfx1201"
	.amdhsa_code_object_version 6
	.protected	fft_rtc_fwd_len2560_factors_4_4_4_10_4_wgs_128_tpt_128_halfLds_half_op_CI_CI_unitstride_sbrr_C2R_dirReg ; -- Begin function fft_rtc_fwd_len2560_factors_4_4_4_10_4_wgs_128_tpt_128_halfLds_half_op_CI_CI_unitstride_sbrr_C2R_dirReg
	.globl	fft_rtc_fwd_len2560_factors_4_4_4_10_4_wgs_128_tpt_128_halfLds_half_op_CI_CI_unitstride_sbrr_C2R_dirReg
	.p2align	8
	.type	fft_rtc_fwd_len2560_factors_4_4_4_10_4_wgs_128_tpt_128_halfLds_half_op_CI_CI_unitstride_sbrr_C2R_dirReg,@function
fft_rtc_fwd_len2560_factors_4_4_4_10_4_wgs_128_tpt_128_halfLds_half_op_CI_CI_unitstride_sbrr_C2R_dirReg: ; @fft_rtc_fwd_len2560_factors_4_4_4_10_4_wgs_128_tpt_128_halfLds_half_op_CI_CI_unitstride_sbrr_C2R_dirReg
; %bb.0:
	s_clause 0x2
	s_load_b128 s[8:11], s[0:1], 0x0
	s_load_b128 s[4:7], s[0:1], 0x58
	;; [unrolled: 1-line block ×3, first 2 shown]
	v_mov_b32_e32 v3, 0
	v_mov_b32_e32 v1, 0
	v_dual_mov_b32 v2, 0 :: v_dual_mov_b32 v5, ttmp9
	s_mov_b32 s3, 0
	s_delay_alu instid0(VALU_DEP_3) | instskip(SKIP_2) | instid1(VALU_DEP_1)
	v_mov_b32_e32 v6, v3
	s_wait_kmcnt 0x0
	v_cmp_lt_u64_e64 s2, s[10:11], 2
	s_and_b32 vcc_lo, exec_lo, s2
	s_cbranch_vccnz .LBB0_8
; %bb.1:
	s_load_b64 s[20:21], s[0:1], 0x10
	v_mov_b32_e32 v1, 0
	v_mov_b32_e32 v2, 0
	s_add_nc_u64 s[16:17], s[14:15], 8
	s_add_nc_u64 s[18:19], s[12:13], 8
	s_mov_b64 s[22:23], 1
	s_delay_alu instid0(VALU_DEP_1)
	v_dual_mov_b32 v9, v2 :: v_dual_mov_b32 v8, v1
	s_wait_kmcnt 0x0
	s_add_nc_u64 s[20:21], s[20:21], 8
.LBB0_2:                                ; =>This Inner Loop Header: Depth=1
	s_load_b64 s[24:25], s[20:21], 0x0
                                        ; implicit-def: $vgpr12_vgpr13
	s_mov_b32 s2, exec_lo
	s_wait_kmcnt 0x0
	v_or_b32_e32 v4, s25, v6
	s_delay_alu instid0(VALU_DEP_1)
	v_cmpx_ne_u64_e32 0, v[3:4]
	s_wait_alu 0xfffe
	s_xor_b32 s26, exec_lo, s2
	s_cbranch_execz .LBB0_4
; %bb.3:                                ;   in Loop: Header=BB0_2 Depth=1
	s_cvt_f32_u32 s2, s24
	s_cvt_f32_u32 s27, s25
	s_sub_nc_u64 s[30:31], 0, s[24:25]
	s_wait_alu 0xfffe
	s_delay_alu instid0(SALU_CYCLE_1) | instskip(SKIP_1) | instid1(SALU_CYCLE_2)
	s_fmamk_f32 s2, s27, 0x4f800000, s2
	s_wait_alu 0xfffe
	v_s_rcp_f32 s2, s2
	s_delay_alu instid0(TRANS32_DEP_1) | instskip(SKIP_1) | instid1(SALU_CYCLE_2)
	s_mul_f32 s2, s2, 0x5f7ffffc
	s_wait_alu 0xfffe
	s_mul_f32 s27, s2, 0x2f800000
	s_wait_alu 0xfffe
	s_delay_alu instid0(SALU_CYCLE_2) | instskip(SKIP_1) | instid1(SALU_CYCLE_2)
	s_trunc_f32 s27, s27
	s_wait_alu 0xfffe
	s_fmamk_f32 s2, s27, 0xcf800000, s2
	s_cvt_u32_f32 s29, s27
	s_wait_alu 0xfffe
	s_delay_alu instid0(SALU_CYCLE_1) | instskip(SKIP_1) | instid1(SALU_CYCLE_2)
	s_cvt_u32_f32 s28, s2
	s_wait_alu 0xfffe
	s_mul_u64 s[34:35], s[30:31], s[28:29]
	s_wait_alu 0xfffe
	s_mul_hi_u32 s37, s28, s35
	s_mul_i32 s36, s28, s35
	s_mul_hi_u32 s2, s28, s34
	s_mul_i32 s33, s29, s34
	s_wait_alu 0xfffe
	s_add_nc_u64 s[36:37], s[2:3], s[36:37]
	s_mul_hi_u32 s27, s29, s34
	s_mul_hi_u32 s38, s29, s35
	s_add_co_u32 s2, s36, s33
	s_wait_alu 0xfffe
	s_add_co_ci_u32 s2, s37, s27
	s_mul_i32 s34, s29, s35
	s_add_co_ci_u32 s35, s38, 0
	s_wait_alu 0xfffe
	s_add_nc_u64 s[34:35], s[2:3], s[34:35]
	s_wait_alu 0xfffe
	v_add_co_u32 v4, s2, s28, s34
	s_delay_alu instid0(VALU_DEP_1) | instskip(SKIP_1) | instid1(VALU_DEP_1)
	s_cmp_lg_u32 s2, 0
	s_add_co_ci_u32 s29, s29, s35
	v_readfirstlane_b32 s28, v4
	s_wait_alu 0xfffe
	s_delay_alu instid0(VALU_DEP_1)
	s_mul_u64 s[30:31], s[30:31], s[28:29]
	s_wait_alu 0xfffe
	s_mul_hi_u32 s35, s28, s31
	s_mul_i32 s34, s28, s31
	s_mul_hi_u32 s2, s28, s30
	s_mul_i32 s33, s29, s30
	s_wait_alu 0xfffe
	s_add_nc_u64 s[34:35], s[2:3], s[34:35]
	s_mul_hi_u32 s27, s29, s30
	s_mul_hi_u32 s28, s29, s31
	s_wait_alu 0xfffe
	s_add_co_u32 s2, s34, s33
	s_add_co_ci_u32 s2, s35, s27
	s_mul_i32 s30, s29, s31
	s_add_co_ci_u32 s31, s28, 0
	s_wait_alu 0xfffe
	s_add_nc_u64 s[30:31], s[2:3], s[30:31]
	s_wait_alu 0xfffe
	v_add_co_u32 v4, s2, v4, s30
	s_delay_alu instid0(VALU_DEP_1) | instskip(SKIP_1) | instid1(VALU_DEP_1)
	s_cmp_lg_u32 s2, 0
	s_add_co_ci_u32 s2, s29, s31
	v_mul_hi_u32 v7, v5, v4
	s_wait_alu 0xfffe
	v_mad_co_u64_u32 v[10:11], null, v5, s2, 0
	v_mad_co_u64_u32 v[12:13], null, v6, v4, 0
	;; [unrolled: 1-line block ×3, first 2 shown]
	s_delay_alu instid0(VALU_DEP_3) | instskip(SKIP_1) | instid1(VALU_DEP_4)
	v_add_co_u32 v4, vcc_lo, v7, v10
	s_wait_alu 0xfffd
	v_add_co_ci_u32_e32 v7, vcc_lo, 0, v11, vcc_lo
	s_delay_alu instid0(VALU_DEP_2) | instskip(SKIP_1) | instid1(VALU_DEP_2)
	v_add_co_u32 v4, vcc_lo, v4, v12
	s_wait_alu 0xfffd
	v_add_co_ci_u32_e32 v4, vcc_lo, v7, v13, vcc_lo
	s_wait_alu 0xfffd
	v_add_co_ci_u32_e32 v7, vcc_lo, 0, v15, vcc_lo
	s_delay_alu instid0(VALU_DEP_2) | instskip(SKIP_1) | instid1(VALU_DEP_2)
	v_add_co_u32 v4, vcc_lo, v4, v14
	s_wait_alu 0xfffd
	v_add_co_ci_u32_e32 v7, vcc_lo, 0, v7, vcc_lo
	s_delay_alu instid0(VALU_DEP_2) | instskip(SKIP_1) | instid1(VALU_DEP_3)
	v_mul_lo_u32 v12, s25, v4
	v_mad_co_u64_u32 v[10:11], null, s24, v4, 0
	v_mul_lo_u32 v13, s24, v7
	s_delay_alu instid0(VALU_DEP_2) | instskip(NEXT) | instid1(VALU_DEP_2)
	v_sub_co_u32 v10, vcc_lo, v5, v10
	v_add3_u32 v11, v11, v13, v12
	s_delay_alu instid0(VALU_DEP_1) | instskip(SKIP_1) | instid1(VALU_DEP_1)
	v_sub_nc_u32_e32 v12, v6, v11
	s_wait_alu 0xfffd
	v_subrev_co_ci_u32_e64 v12, s2, s25, v12, vcc_lo
	v_add_co_u32 v13, s2, v4, 2
	s_wait_alu 0xf1ff
	v_add_co_ci_u32_e64 v14, s2, 0, v7, s2
	v_sub_co_u32 v15, s2, v10, s24
	v_sub_co_ci_u32_e32 v11, vcc_lo, v6, v11, vcc_lo
	s_wait_alu 0xf1ff
	v_subrev_co_ci_u32_e64 v12, s2, 0, v12, s2
	s_delay_alu instid0(VALU_DEP_3) | instskip(NEXT) | instid1(VALU_DEP_3)
	v_cmp_le_u32_e32 vcc_lo, s24, v15
	v_cmp_eq_u32_e64 s2, s25, v11
	s_wait_alu 0xfffd
	v_cndmask_b32_e64 v15, 0, -1, vcc_lo
	v_cmp_le_u32_e32 vcc_lo, s25, v12
	s_wait_alu 0xfffd
	v_cndmask_b32_e64 v16, 0, -1, vcc_lo
	v_cmp_le_u32_e32 vcc_lo, s24, v10
	;; [unrolled: 3-line block ×3, first 2 shown]
	s_wait_alu 0xfffd
	v_cndmask_b32_e64 v17, 0, -1, vcc_lo
	v_cmp_eq_u32_e32 vcc_lo, s25, v12
	s_wait_alu 0xf1ff
	s_delay_alu instid0(VALU_DEP_2)
	v_cndmask_b32_e64 v10, v17, v10, s2
	s_wait_alu 0xfffd
	v_cndmask_b32_e32 v12, v16, v15, vcc_lo
	v_add_co_u32 v15, vcc_lo, v4, 1
	s_wait_alu 0xfffd
	v_add_co_ci_u32_e32 v16, vcc_lo, 0, v7, vcc_lo
	s_delay_alu instid0(VALU_DEP_3) | instskip(SKIP_1) | instid1(VALU_DEP_2)
	v_cmp_ne_u32_e32 vcc_lo, 0, v12
	s_wait_alu 0xfffd
	v_dual_cndmask_b32 v11, v16, v14 :: v_dual_cndmask_b32 v12, v15, v13
	v_cmp_ne_u32_e32 vcc_lo, 0, v10
	s_wait_alu 0xfffd
	s_delay_alu instid0(VALU_DEP_2)
	v_dual_cndmask_b32 v13, v7, v11 :: v_dual_cndmask_b32 v12, v4, v12
.LBB0_4:                                ;   in Loop: Header=BB0_2 Depth=1
	s_wait_alu 0xfffe
	s_and_not1_saveexec_b32 s2, s26
	s_cbranch_execz .LBB0_6
; %bb.5:                                ;   in Loop: Header=BB0_2 Depth=1
	v_cvt_f32_u32_e32 v4, s24
	s_sub_co_i32 s26, 0, s24
	v_mov_b32_e32 v13, v3
	s_delay_alu instid0(VALU_DEP_2) | instskip(NEXT) | instid1(TRANS32_DEP_1)
	v_rcp_iflag_f32_e32 v4, v4
	v_mul_f32_e32 v4, 0x4f7ffffe, v4
	s_delay_alu instid0(VALU_DEP_1) | instskip(SKIP_1) | instid1(VALU_DEP_1)
	v_cvt_u32_f32_e32 v4, v4
	s_wait_alu 0xfffe
	v_mul_lo_u32 v7, s26, v4
	s_delay_alu instid0(VALU_DEP_1) | instskip(NEXT) | instid1(VALU_DEP_1)
	v_mul_hi_u32 v7, v4, v7
	v_add_nc_u32_e32 v4, v4, v7
	s_delay_alu instid0(VALU_DEP_1) | instskip(NEXT) | instid1(VALU_DEP_1)
	v_mul_hi_u32 v4, v5, v4
	v_mul_lo_u32 v7, v4, s24
	v_add_nc_u32_e32 v10, 1, v4
	s_delay_alu instid0(VALU_DEP_2) | instskip(NEXT) | instid1(VALU_DEP_1)
	v_sub_nc_u32_e32 v7, v5, v7
	v_subrev_nc_u32_e32 v11, s24, v7
	v_cmp_le_u32_e32 vcc_lo, s24, v7
	s_wait_alu 0xfffd
	s_delay_alu instid0(VALU_DEP_2) | instskip(NEXT) | instid1(VALU_DEP_1)
	v_dual_cndmask_b32 v7, v7, v11 :: v_dual_cndmask_b32 v4, v4, v10
	v_cmp_le_u32_e32 vcc_lo, s24, v7
	s_delay_alu instid0(VALU_DEP_2) | instskip(SKIP_1) | instid1(VALU_DEP_1)
	v_add_nc_u32_e32 v10, 1, v4
	s_wait_alu 0xfffd
	v_cndmask_b32_e32 v12, v4, v10, vcc_lo
.LBB0_6:                                ;   in Loop: Header=BB0_2 Depth=1
	s_wait_alu 0xfffe
	s_or_b32 exec_lo, exec_lo, s2
	v_mul_lo_u32 v4, v13, s24
	s_delay_alu instid0(VALU_DEP_2)
	v_mul_lo_u32 v7, v12, s25
	s_load_b64 s[26:27], s[18:19], 0x0
	v_mad_co_u64_u32 v[10:11], null, v12, s24, 0
	s_load_b64 s[24:25], s[16:17], 0x0
	s_add_nc_u64 s[22:23], s[22:23], 1
	s_add_nc_u64 s[16:17], s[16:17], 8
	s_wait_alu 0xfffe
	v_cmp_ge_u64_e64 s2, s[22:23], s[10:11]
	s_add_nc_u64 s[18:19], s[18:19], 8
	s_add_nc_u64 s[20:21], s[20:21], 8
	v_add3_u32 v4, v11, v7, v4
	v_sub_co_u32 v5, vcc_lo, v5, v10
	s_wait_alu 0xfffd
	s_delay_alu instid0(VALU_DEP_2) | instskip(SKIP_2) | instid1(VALU_DEP_1)
	v_sub_co_ci_u32_e32 v4, vcc_lo, v6, v4, vcc_lo
	s_and_b32 vcc_lo, exec_lo, s2
	s_wait_kmcnt 0x0
	v_mul_lo_u32 v6, s26, v4
	v_mul_lo_u32 v7, s27, v5
	v_mad_co_u64_u32 v[1:2], null, s26, v5, v[1:2]
	v_mul_lo_u32 v4, s24, v4
	v_mul_lo_u32 v10, s25, v5
	v_mad_co_u64_u32 v[8:9], null, s24, v5, v[8:9]
	s_delay_alu instid0(VALU_DEP_4) | instskip(NEXT) | instid1(VALU_DEP_2)
	v_add3_u32 v2, v7, v2, v6
	v_add3_u32 v9, v10, v9, v4
	s_wait_alu 0xfffe
	s_cbranch_vccnz .LBB0_9
; %bb.7:                                ;   in Loop: Header=BB0_2 Depth=1
	v_dual_mov_b32 v5, v12 :: v_dual_mov_b32 v6, v13
	s_branch .LBB0_2
.LBB0_8:
	v_dual_mov_b32 v9, v2 :: v_dual_mov_b32 v8, v1
	v_dual_mov_b32 v13, v6 :: v_dual_mov_b32 v12, v5
.LBB0_9:
	s_load_b64 s[0:1], s[0:1], 0x28
	s_lshl_b64 s[10:11], s[10:11], 3
                                        ; implicit-def: $vgpr10
	s_wait_alu 0xfffe
	s_add_nc_u64 s[2:3], s[14:15], s[10:11]
	s_wait_kmcnt 0x0
	v_cmp_gt_u64_e32 vcc_lo, s[0:1], v[12:13]
	v_cmp_le_u64_e64 s0, s[0:1], v[12:13]
	s_delay_alu instid0(VALU_DEP_1)
	s_and_saveexec_b32 s1, s0
	s_wait_alu 0xfffe
	s_xor_b32 s0, exec_lo, s1
; %bb.10:
	v_mov_b32_e32 v10, v0
                                        ; implicit-def: $vgpr1_vgpr2
; %bb.11:
	s_wait_alu 0xfffe
	s_or_saveexec_b32 s1, s0
	s_load_b64 s[2:3], s[2:3], 0x0
	s_xor_b32 exec_lo, exec_lo, s1
	s_cbranch_execz .LBB0_15
; %bb.12:
	s_add_nc_u64 s[10:11], s[12:13], s[10:11]
	v_lshlrev_b64_e32 v[1:2], 2, v[1:2]
	s_load_b64 s[10:11], s[10:11], 0x0
	v_lshlrev_b32_e32 v7, 2, v0
	s_delay_alu instid0(VALU_DEP_1)
	v_or_b32_e32 v14, 0xe00, v7
	v_or_b32_e32 v15, 0x1e00, v7
	s_wait_kmcnt 0x0
	v_mul_lo_u32 v5, s11, v12
	v_mul_lo_u32 v6, s10, v13
	v_mad_co_u64_u32 v[3:4], null, s10, v12, 0
	s_delay_alu instid0(VALU_DEP_1) | instskip(NEXT) | instid1(VALU_DEP_1)
	v_add3_u32 v4, v4, v6, v5
	v_lshlrev_b64_e32 v[3:4], 2, v[3:4]
	s_delay_alu instid0(VALU_DEP_1) | instskip(SKIP_1) | instid1(VALU_DEP_2)
	v_add_co_u32 v3, s0, s4, v3
	s_wait_alu 0xf1ff
	v_add_co_ci_u32_e64 v4, s0, s5, v4, s0
	s_mov_b32 s4, exec_lo
	s_delay_alu instid0(VALU_DEP_2) | instskip(SKIP_1) | instid1(VALU_DEP_2)
	v_add_co_u32 v1, s0, v3, v1
	s_wait_alu 0xf1ff
	v_add_co_ci_u32_e64 v2, s0, v4, v2, s0
	s_delay_alu instid0(VALU_DEP_2) | instskip(SKIP_1) | instid1(VALU_DEP_2)
	v_add_co_u32 v3, s0, v1, v7
	s_wait_alu 0xf1ff
	v_add_co_ci_u32_e64 v4, s0, 0, v2, s0
	v_add_co_u32 v5, s0, v1, v14
	s_wait_alu 0xf1ff
	v_add_co_ci_u32_e64 v6, s0, 0, v2, s0
	;; [unrolled: 3-line block ×3, first 2 shown]
	s_clause 0x13
	global_load_b32 v16, v[3:4], off
	global_load_b32 v17, v[3:4], off offset:512
	global_load_b32 v18, v[3:4], off offset:1024
	;; [unrolled: 1-line block ×7, first 2 shown]
	global_load_b32 v5, v[5:6], off
	global_load_b32 v6, v[10:11], off
	global_load_b32 v11, v[3:4], off offset:4608
	global_load_b32 v24, v[3:4], off offset:5120
	;; [unrolled: 1-line block ×10, first 2 shown]
	v_mov_b32_e32 v10, v0
	v_add_nc_u32_e32 v4, 0, v7
	v_add_nc_u32_e32 v7, 0, v14
	;; [unrolled: 1-line block ×3, first 2 shown]
	s_wait_loadcnt 0x12
	ds_store_2addr_stride64_b32 v4, v16, v17 offset1:2
	s_wait_loadcnt 0x10
	ds_store_2addr_stride64_b32 v4, v18, v19 offset0:4 offset1:6
	s_wait_loadcnt 0xe
	ds_store_2addr_stride64_b32 v4, v20, v21 offset0:8 offset1:10
	;; [unrolled: 2-line block ×6, first 2 shown]
	ds_store_b32 v7, v5
	ds_store_b32 v14, v6
	s_wait_loadcnt 0x2
	ds_store_2addr_stride64_b32 v4, v29, v30 offset0:32 offset1:34
	s_wait_loadcnt 0x0
	ds_store_2addr_stride64_b32 v4, v31, v3 offset0:36 offset1:38
	v_cmpx_eq_u32_e32 0x7f, v0
	s_cbranch_execz .LBB0_14
; %bb.13:
	global_load_b32 v1, v[1:2], off offset:10240
	v_mov_b32_e32 v2, 0
	v_mov_b32_e32 v10, 0x7f
	s_wait_loadcnt 0x0
	ds_store_b32 v2, v1 offset:10240
.LBB0_14:
	s_wait_alu 0xfffe
	s_or_b32 exec_lo, exec_lo, s4
.LBB0_15:
	s_delay_alu instid0(SALU_CYCLE_1)
	s_or_b32 exec_lo, exec_lo, s1
	v_lshlrev_b32_e32 v3, 2, v10
	global_wb scope:SCOPE_SE
	s_wait_dscnt 0x0
	s_wait_kmcnt 0x0
	s_barrier_signal -1
	s_barrier_wait -1
	global_inv scope:SCOPE_SE
	v_add_nc_u32_e32 v14, 0, v3
	v_sub_nc_u32_e32 v4, 0, v3
	s_mov_b32 s1, exec_lo
                                        ; implicit-def: $vgpr1_vgpr2
	ds_load_u16 v7, v14
	ds_load_u16 v15, v4 offset:10240
	s_wait_dscnt 0x0
	v_add_f16_e32 v6, v15, v7
	v_sub_f16_e32 v5, v7, v15
	v_cmpx_ne_u32_e32 0, v10
	s_wait_alu 0xfffe
	s_xor_b32 s1, exec_lo, s1
	s_cbranch_execz .LBB0_17
; %bb.16:
	v_mov_b32_e32 v11, 0
	v_add_f16_e32 v6, v15, v7
	v_sub_f16_e32 v7, v7, v15
	s_delay_alu instid0(VALU_DEP_3) | instskip(NEXT) | instid1(VALU_DEP_1)
	v_lshlrev_b64_e32 v[1:2], 2, v[10:11]
	v_add_co_u32 v1, s0, s8, v1
	s_wait_alu 0xf1ff
	s_delay_alu instid0(VALU_DEP_2)
	v_add_co_ci_u32_e64 v2, s0, s9, v2, s0
	global_load_b32 v1, v[1:2], off offset:10224
	ds_load_u16 v2, v4 offset:10242
	ds_load_u16 v5, v14 offset:2
	s_wait_dscnt 0x0
	v_add_f16_e32 v15, v2, v5
	v_sub_f16_e32 v2, v5, v2
	s_wait_loadcnt 0x0
	v_lshrrev_b32_e32 v16, 16, v1
	s_delay_alu instid0(VALU_DEP_1) | instskip(NEXT) | instid1(VALU_DEP_3)
	v_fma_f16 v17, -v7, v16, v6
	v_fma_f16 v18, v15, v16, -v2
	v_fma_f16 v5, v15, v16, v2
	v_fma_f16 v6, v7, v16, v6
	s_delay_alu instid0(VALU_DEP_4) | instskip(NEXT) | instid1(VALU_DEP_4)
	v_fmac_f16_e32 v17, v1, v15
	v_fmac_f16_e32 v18, v7, v1
	s_delay_alu instid0(VALU_DEP_4) | instskip(NEXT) | instid1(VALU_DEP_4)
	v_fmac_f16_e32 v5, v7, v1
	v_fma_f16 v6, -v1, v15, v6
	v_dual_mov_b32 v1, v10 :: v_dual_mov_b32 v2, v11
	s_delay_alu instid0(VALU_DEP_4)
	v_pack_b32_f16 v7, v17, v18
	ds_store_b32 v4, v7 offset:10240
.LBB0_17:
	s_wait_alu 0xfffe
	s_and_not1_saveexec_b32 s0, s1
	s_cbranch_execz .LBB0_19
; %bb.18:
	v_mov_b32_e32 v7, 0
	ds_load_b32 v1, v7 offset:5120
	s_wait_dscnt 0x0
	v_pk_mul_f16 v11, 0xc0004000, v1
	v_mov_b32_e32 v1, 0
	v_mov_b32_e32 v2, 0
	ds_store_b32 v7, v11 offset:5120
.LBB0_19:
	s_wait_alu 0xfffe
	s_or_b32 exec_lo, exec_lo, s0
	v_lshlrev_b64_e32 v[1:2], 2, v[1:2]
	s_add_nc_u64 s[0:1], s[8:9], 0x27f0
	v_perm_b32 v5, v5, v6, 0x5040100
	v_lshl_or_b32 v6, v0, 2, 0xe00
	v_and_b32_e32 v31, 3, v0
	v_or_b32_e32 v29, 0x100, v10
	s_wait_alu 0xfffe
	v_add_co_u32 v1, s0, s0, v1
	s_wait_alu 0xf1ff
	v_add_co_ci_u32_e64 v2, s0, s1, v2, s0
	v_mul_u32_u24_e32 v34, 3, v31
	v_or_b32_e32 v30, 0x180, v10
	v_or_b32_e32 v32, 0x200, v10
	s_clause 0x5
	global_load_b32 v7, v[1:2], off offset:512
	global_load_b32 v11, v[1:2], off offset:1024
	;; [unrolled: 1-line block ×6, first 2 shown]
	ds_store_b32 v14, v5
	global_load_b32 v5, v6, s[8:9] offset:10224
	ds_load_b32 v19, v14 offset:512
	ds_load_b32 v20, v4 offset:9728
	s_clause 0x1
	global_load_b32 v23, v[1:2], off offset:4096
	global_load_b32 v1, v[1:2], off offset:4608
	v_add_nc_u32_e32 v6, 0, v6
	v_mad_u32_u24 v33, v10, 12, v14
	v_lshlrev_b32_e32 v34, 2, v34
	v_lshl_add_u32 v36, v29, 4, 0
	v_lshl_add_u32 v37, v30, 4, 0
	;; [unrolled: 1-line block ×3, first 2 shown]
	s_wait_dscnt 0x1
	v_lshrrev_b32_e32 v21, 16, v19
	s_wait_dscnt 0x0
	v_lshrrev_b32_e32 v22, 16, v20
	v_add_f16_e32 v2, v19, v20
	v_sub_f16_e32 v19, v19, v20
	s_delay_alu instid0(VALU_DEP_3) | instskip(SKIP_3) | instid1(VALU_DEP_1)
	v_add_f16_e32 v20, v22, v21
	v_sub_f16_e32 v21, v21, v22
	s_wait_loadcnt 0x8
	v_lshrrev_b32_e32 v24, 16, v7
	v_fma_f16 v22, v19, v24, v2
	s_delay_alu instid0(VALU_DEP_3) | instskip(SKIP_2) | instid1(VALU_DEP_4)
	v_fma_f16 v25, v20, v24, v21
	v_fma_f16 v2, -v19, v24, v2
	v_fma_f16 v21, v20, v24, -v21
	v_fma_f16 v22, -v7, v20, v22
	s_delay_alu instid0(VALU_DEP_4) | instskip(NEXT) | instid1(VALU_DEP_4)
	v_fmac_f16_e32 v25, v19, v7
	v_fmac_f16_e32 v2, v7, v20
	s_delay_alu instid0(VALU_DEP_4) | instskip(NEXT) | instid1(VALU_DEP_3)
	v_fmac_f16_e32 v21, v19, v7
	v_pack_b32_f16 v7, v22, v25
	s_delay_alu instid0(VALU_DEP_2)
	v_pack_b32_f16 v2, v2, v21
	s_wait_loadcnt 0x7
	v_lshrrev_b32_e32 v21, 16, v11
	ds_store_b32 v14, v7 offset:512
	ds_store_b32 v4, v2 offset:9728
	ds_load_b32 v2, v14 offset:1024
	ds_load_b32 v7, v4 offset:9216
	s_wait_dscnt 0x1
	v_lshrrev_b32_e32 v19, 16, v2
	s_wait_dscnt 0x0
	v_lshrrev_b32_e32 v20, 16, v7
	v_add_f16_e32 v22, v2, v7
	v_sub_f16_e32 v2, v2, v7
	s_delay_alu instid0(VALU_DEP_3) | instskip(SKIP_1) | instid1(VALU_DEP_3)
	v_add_f16_e32 v7, v20, v19
	v_sub_f16_e32 v19, v19, v20
	v_fma_f16 v20, v2, v21, v22
	v_fma_f16 v22, -v2, v21, v22
	s_delay_alu instid0(VALU_DEP_3) | instskip(SKIP_1) | instid1(VALU_DEP_4)
	v_fma_f16 v24, v7, v21, v19
	v_fma_f16 v19, v7, v21, -v19
	v_fma_f16 v20, -v11, v7, v20
	s_delay_alu instid0(VALU_DEP_4) | instskip(NEXT) | instid1(VALU_DEP_4)
	v_fmac_f16_e32 v22, v11, v7
	v_fmac_f16_e32 v24, v2, v11
	s_delay_alu instid0(VALU_DEP_4) | instskip(NEXT) | instid1(VALU_DEP_2)
	v_fmac_f16_e32 v19, v2, v11
	v_pack_b32_f16 v2, v20, v24
	s_delay_alu instid0(VALU_DEP_2)
	v_pack_b32_f16 v7, v22, v19
	ds_store_b32 v14, v2 offset:1024
	ds_store_b32 v4, v7 offset:9216
	ds_load_b32 v2, v14 offset:1536
	ds_load_b32 v7, v4 offset:8704
	s_wait_loadcnt 0x6
	v_lshrrev_b32_e32 v20, 16, v15
	s_wait_dscnt 0x1
	v_lshrrev_b32_e32 v11, 16, v2
	s_wait_dscnt 0x0
	v_lshrrev_b32_e32 v19, 16, v7
	v_add_f16_e32 v21, v2, v7
	v_sub_f16_e32 v2, v2, v7
	s_delay_alu instid0(VALU_DEP_3) | instskip(SKIP_1) | instid1(VALU_DEP_3)
	v_add_f16_e32 v7, v19, v11
	v_sub_f16_e32 v11, v11, v19
	v_fma_f16 v19, v2, v20, v21
	v_fma_f16 v21, -v2, v20, v21
	s_delay_alu instid0(VALU_DEP_3) | instskip(SKIP_1) | instid1(VALU_DEP_4)
	v_fma_f16 v22, v7, v20, v11
	v_fma_f16 v11, v7, v20, -v11
	v_fma_f16 v19, -v15, v7, v19
	s_delay_alu instid0(VALU_DEP_4) | instskip(NEXT) | instid1(VALU_DEP_4)
	v_fmac_f16_e32 v21, v15, v7
	v_fmac_f16_e32 v22, v2, v15
	s_delay_alu instid0(VALU_DEP_4) | instskip(NEXT) | instid1(VALU_DEP_2)
	v_fmac_f16_e32 v11, v2, v15
	v_pack_b32_f16 v2, v19, v22
	s_delay_alu instid0(VALU_DEP_2)
	v_pack_b32_f16 v7, v21, v11
	ds_store_b32 v14, v2 offset:1536
	ds_store_b32 v4, v7 offset:8704
	ds_load_b32 v2, v14 offset:2048
	ds_load_b32 v7, v4 offset:8192
	s_wait_loadcnt 0x5
	v_lshrrev_b32_e32 v19, 16, v16
	s_wait_dscnt 0x1
	v_lshrrev_b32_e32 v11, 16, v2
	s_wait_dscnt 0x0
	v_lshrrev_b32_e32 v15, 16, v7
	v_add_f16_e32 v20, v2, v7
	v_sub_f16_e32 v2, v2, v7
	s_delay_alu instid0(VALU_DEP_3) | instskip(SKIP_1) | instid1(VALU_DEP_3)
	v_add_f16_e32 v7, v15, v11
	v_sub_f16_e32 v11, v11, v15
	v_fma_f16 v15, v2, v19, v20
	v_fma_f16 v20, -v2, v19, v20
	s_delay_alu instid0(VALU_DEP_3) | instskip(SKIP_1) | instid1(VALU_DEP_4)
	v_fma_f16 v21, v7, v19, v11
	v_fma_f16 v11, v7, v19, -v11
	v_fma_f16 v15, -v16, v7, v15
	s_delay_alu instid0(VALU_DEP_4) | instskip(NEXT) | instid1(VALU_DEP_4)
	v_fmac_f16_e32 v20, v16, v7
	v_fmac_f16_e32 v21, v2, v16
	s_delay_alu instid0(VALU_DEP_4) | instskip(SKIP_2) | instid1(VALU_DEP_3)
	v_fmac_f16_e32 v11, v2, v16
	s_wait_loadcnt 0x4
	v_lshrrev_b32_e32 v16, 16, v17
	v_pack_b32_f16 v2, v15, v21
	s_delay_alu instid0(VALU_DEP_3)
	v_pack_b32_f16 v7, v20, v11
	ds_store_b32 v14, v2 offset:2048
	ds_store_b32 v4, v7 offset:8192
	ds_load_b32 v2, v14 offset:2560
	ds_load_b32 v7, v4 offset:7680
	s_wait_dscnt 0x1
	v_lshrrev_b32_e32 v11, 16, v2
	s_wait_dscnt 0x0
	v_lshrrev_b32_e32 v15, 16, v7
	v_add_f16_e32 v19, v2, v7
	v_sub_f16_e32 v2, v2, v7
	s_delay_alu instid0(VALU_DEP_3) | instskip(SKIP_1) | instid1(VALU_DEP_3)
	v_add_f16_e32 v7, v15, v11
	v_sub_f16_e32 v11, v11, v15
	v_fma_f16 v15, v2, v16, v19
	v_fma_f16 v19, -v2, v16, v19
	s_delay_alu instid0(VALU_DEP_3) | instskip(SKIP_1) | instid1(VALU_DEP_4)
	v_fma_f16 v20, v7, v16, v11
	v_fma_f16 v11, v7, v16, -v11
	v_fma_f16 v15, -v17, v7, v15
	s_delay_alu instid0(VALU_DEP_4) | instskip(SKIP_4) | instid1(VALU_DEP_2)
	v_fmac_f16_e32 v19, v17, v7
	s_wait_loadcnt 0x3
	v_lshrrev_b32_e32 v16, 16, v18
	v_fmac_f16_e32 v20, v2, v17
	v_fmac_f16_e32 v11, v2, v17
	v_pack_b32_f16 v2, v15, v20
	s_delay_alu instid0(VALU_DEP_2)
	v_pack_b32_f16 v7, v19, v11
	ds_store_b32 v14, v2 offset:2560
	ds_store_b32 v4, v7 offset:7680
	ds_load_b32 v2, v14 offset:3072
	ds_load_b32 v7, v4 offset:7168
	s_wait_dscnt 0x1
	v_lshrrev_b32_e32 v11, 16, v2
	s_wait_dscnt 0x0
	v_lshrrev_b32_e32 v15, 16, v7
	v_add_f16_e32 v17, v2, v7
	v_sub_f16_e32 v2, v2, v7
	s_delay_alu instid0(VALU_DEP_3) | instskip(SKIP_1) | instid1(VALU_DEP_3)
	v_add_f16_e32 v7, v15, v11
	v_sub_f16_e32 v11, v11, v15
	v_fma_f16 v15, v2, v16, v17
	v_fma_f16 v17, -v2, v16, v17
	s_delay_alu instid0(VALU_DEP_3) | instskip(SKIP_1) | instid1(VALU_DEP_4)
	v_fma_f16 v19, v7, v16, v11
	v_fma_f16 v11, v7, v16, -v11
	v_fma_f16 v15, -v18, v7, v15
	s_delay_alu instid0(VALU_DEP_4) | instskip(SKIP_4) | instid1(VALU_DEP_2)
	v_fmac_f16_e32 v17, v18, v7
	s_wait_loadcnt 0x2
	v_lshrrev_b32_e32 v16, 16, v5
	v_fmac_f16_e32 v19, v2, v18
	v_fmac_f16_e32 v11, v2, v18
	v_pack_b32_f16 v2, v15, v19
	s_delay_alu instid0(VALU_DEP_2)
	v_pack_b32_f16 v7, v17, v11
	ds_store_b32 v14, v2 offset:3072
	ds_store_b32 v4, v7 offset:7168
	ds_load_b32 v2, v6
	ds_load_b32 v7, v4 offset:6656
	s_wait_dscnt 0x1
	v_lshrrev_b32_e32 v11, 16, v2
	s_wait_dscnt 0x0
	v_lshrrev_b32_e32 v15, 16, v7
	v_add_f16_e32 v17, v2, v7
	v_sub_f16_e32 v2, v2, v7
	s_delay_alu instid0(VALU_DEP_3) | instskip(SKIP_1) | instid1(VALU_DEP_3)
	v_add_f16_e32 v7, v15, v11
	v_sub_f16_e32 v11, v11, v15
	v_fma_f16 v15, v2, v16, v17
	v_fma_f16 v17, -v2, v16, v17
	s_delay_alu instid0(VALU_DEP_3) | instskip(SKIP_1) | instid1(VALU_DEP_4)
	v_fma_f16 v18, v7, v16, v11
	v_fma_f16 v11, v7, v16, -v11
	v_fma_f16 v15, -v5, v7, v15
	s_delay_alu instid0(VALU_DEP_4) | instskip(NEXT) | instid1(VALU_DEP_4)
	v_fmac_f16_e32 v17, v5, v7
	v_fmac_f16_e32 v18, v2, v5
	s_delay_alu instid0(VALU_DEP_4) | instskip(NEXT) | instid1(VALU_DEP_2)
	v_fmac_f16_e32 v11, v2, v5
	v_pack_b32_f16 v2, v15, v18
	s_delay_alu instid0(VALU_DEP_2)
	v_pack_b32_f16 v5, v17, v11
	ds_store_b32 v6, v2
	ds_store_b32 v4, v5 offset:6656
	ds_load_b32 v2, v14 offset:4096
	ds_load_b32 v5, v4 offset:6144
	s_wait_loadcnt 0x1
	v_lshrrev_b32_e32 v11, 16, v23
	s_wait_dscnt 0x1
	v_lshrrev_b32_e32 v6, 16, v2
	s_wait_dscnt 0x0
	v_lshrrev_b32_e32 v7, 16, v5
	v_add_f16_e32 v15, v2, v5
	v_sub_f16_e32 v2, v2, v5
	s_delay_alu instid0(VALU_DEP_3) | instskip(SKIP_1) | instid1(VALU_DEP_3)
	v_add_f16_e32 v5, v7, v6
	v_sub_f16_e32 v6, v6, v7
	v_fma_f16 v7, v2, v11, v15
	v_fma_f16 v15, -v2, v11, v15
	s_delay_alu instid0(VALU_DEP_3) | instskip(SKIP_1) | instid1(VALU_DEP_4)
	v_fma_f16 v16, v5, v11, v6
	v_fma_f16 v6, v5, v11, -v6
	v_fma_f16 v7, -v23, v5, v7
	s_delay_alu instid0(VALU_DEP_4) | instskip(SKIP_4) | instid1(VALU_DEP_2)
	v_fmac_f16_e32 v15, v23, v5
	s_wait_loadcnt 0x0
	v_lshrrev_b32_e32 v11, 16, v1
	v_fmac_f16_e32 v16, v2, v23
	v_fmac_f16_e32 v6, v2, v23
	v_pack_b32_f16 v2, v7, v16
	s_delay_alu instid0(VALU_DEP_2)
	v_pack_b32_f16 v5, v15, v6
	ds_store_b32 v14, v2 offset:4096
	ds_store_b32 v4, v5 offset:6144
	ds_load_b32 v2, v14 offset:4608
	ds_load_b32 v5, v4 offset:5632
	s_wait_dscnt 0x1
	v_lshrrev_b32_e32 v6, 16, v2
	s_wait_dscnt 0x0
	v_lshrrev_b32_e32 v7, 16, v5
	v_add_f16_e32 v15, v2, v5
	v_sub_f16_e32 v2, v2, v5
	s_delay_alu instid0(VALU_DEP_3) | instskip(SKIP_1) | instid1(VALU_DEP_3)
	v_add_f16_e32 v5, v7, v6
	v_sub_f16_e32 v6, v6, v7
	v_fma_f16 v7, v2, v11, v15
	v_fma_f16 v15, -v2, v11, v15
	s_delay_alu instid0(VALU_DEP_3) | instskip(SKIP_1) | instid1(VALU_DEP_4)
	v_fma_f16 v16, v5, v11, v6
	v_fma_f16 v6, v5, v11, -v6
	v_fma_f16 v7, -v1, v5, v7
	s_delay_alu instid0(VALU_DEP_4) | instskip(SKIP_3) | instid1(VALU_DEP_3)
	v_fmac_f16_e32 v15, v1, v5
	v_or_b32_e32 v11, 0x80, v10
	v_fmac_f16_e32 v16, v2, v1
	v_fmac_f16_e32 v6, v2, v1
	v_lshl_add_u32 v35, v11, 4, 0
	s_delay_alu instid0(VALU_DEP_3) | instskip(NEXT) | instid1(VALU_DEP_3)
	v_pack_b32_f16 v1, v7, v16
	v_pack_b32_f16 v2, v15, v6
	ds_store_b32 v14, v1 offset:4608
	ds_store_b32 v4, v2 offset:5632
	global_wb scope:SCOPE_SE
	s_wait_dscnt 0x0
	s_barrier_signal -1
	s_barrier_wait -1
	global_inv scope:SCOPE_SE
	global_wb scope:SCOPE_SE
	s_barrier_signal -1
	s_barrier_wait -1
	global_inv scope:SCOPE_SE
	ds_load_2addr_stride64_b32 v[1:2], v14 offset1:2
	ds_load_2addr_stride64_b32 v[4:5], v14 offset0:8 offset1:10
	ds_load_2addr_stride64_b32 v[6:7], v14 offset0:20 offset1:22
	;; [unrolled: 1-line block ×9, first 2 shown]
	global_wb scope:SCOPE_SE
	s_wait_dscnt 0x0
	s_barrier_signal -1
	s_barrier_wait -1
	global_inv scope:SCOPE_SE
	v_pk_add_f16 v6, v1, v6 neg_lo:[0,1] neg_hi:[0,1]
	v_pk_add_f16 v16, v5, v16 neg_lo:[0,1] neg_hi:[0,1]
	;; [unrolled: 1-line block ×10, first 2 shown]
	s_wait_alu 0xf1ff
	v_alignbit_b32 v39, s0, v16, 16
	v_alignbit_b32 v41, s0, v6, 16
	v_alignbit_b32 v42, s0, v19, 16
	v_alignbit_b32 v44, s0, v7, 16
	v_alignbit_b32 v45, s0, v20, 16
	v_alignbit_b32 v47, s0, v23, 16
	v_pk_fma_f16 v1, v1, 2.0, v6 op_sel_hi:[1,0,1] neg_lo:[0,0,1] neg_hi:[0,0,1]
	v_pk_fma_f16 v5, v5, 2.0, v16 op_sel_hi:[1,0,1] neg_lo:[0,0,1] neg_hi:[0,0,1]
	v_lshrrev_b32_e32 v40, 16, v6
	v_alignbit_b32 v48, s0, v27, 16
	v_alignbit_b32 v50, s0, v24, 16
	;; [unrolled: 1-line block ×4, first 2 shown]
	v_pk_add_f16 v39, v6, v39 neg_lo:[0,1] neg_hi:[0,1]
	v_pk_add_f16 v16, v41, v16
	v_pk_fma_f16 v2, v2, 2.0, v7 op_sel_hi:[1,0,1] neg_lo:[0,0,1] neg_hi:[0,0,1]
	v_pk_fma_f16 v17, v17, 2.0, v19 op_sel_hi:[1,0,1] neg_lo:[0,0,1] neg_hi:[0,0,1]
	v_lshrrev_b32_e32 v43, 16, v7
	v_pk_add_f16 v41, v7, v42 neg_lo:[0,1] neg_hi:[0,1]
	v_pk_add_f16 v19, v44, v19
	v_pk_fma_f16 v21, v21, 2.0, v23 op_sel_hi:[1,0,1] neg_lo:[0,0,1] neg_hi:[0,0,1]
	v_pk_fma_f16 v18, v18, 2.0, v20 op_sel_hi:[1,0,1] neg_lo:[0,0,1] neg_hi:[0,0,1]
	v_lshrrev_b32_e32 v46, 16, v23
	v_pk_fma_f16 v4, v4, 2.0, v15 op_sel_hi:[1,0,1] neg_lo:[0,0,1] neg_hi:[0,0,1]
	v_pk_fma_f16 v26, v26, 2.0, v28 op_sel_hi:[1,0,1] neg_lo:[0,0,1] neg_hi:[0,0,1]
	v_pk_add_f16 v42, v23, v45 neg_lo:[0,1] neg_hi:[0,1]
	v_pk_add_f16 v20, v47, v20
	v_pk_fma_f16 v22, v22, 2.0, v24 op_sel_hi:[1,0,1] neg_lo:[0,0,1] neg_hi:[0,0,1]
	v_pk_fma_f16 v25, v25, 2.0, v27 op_sel_hi:[1,0,1] neg_lo:[0,0,1] neg_hi:[0,0,1]
	v_lshrrev_b32_e32 v49, 16, v24
	v_lshrrev_b32_e32 v52, 16, v15
	v_pk_add_f16 v5, v1, v5 neg_lo:[0,1] neg_hi:[0,1]
	v_pk_add_f16 v44, v24, v48 neg_lo:[0,1] neg_hi:[0,1]
	v_pk_add_f16 v27, v50, v27
	v_pk_add_f16 v45, v15, v51 neg_lo:[0,1] neg_hi:[0,1]
	v_pk_add_f16 v28, v53, v28
	v_fma_f16 v6, v6, 2.0, -v39
	v_fma_f16 v40, v40, 2.0, -v16
	v_pk_add_f16 v17, v2, v17 neg_lo:[0,1] neg_hi:[0,1]
	v_fma_f16 v7, v7, 2.0, -v41
	v_fma_f16 v43, v43, 2.0, -v19
	v_pk_add_f16 v18, v21, v18 neg_lo:[0,1] neg_hi:[0,1]
	v_pk_add_f16 v26, v4, v26 neg_lo:[0,1] neg_hi:[0,1]
	v_fma_f16 v23, v23, 2.0, -v42
	v_fma_f16 v46, v46, 2.0, -v20
	v_pk_add_f16 v25, v22, v25 neg_lo:[0,1] neg_hi:[0,1]
	v_pk_fma_f16 v1, v1, 2.0, v5 op_sel_hi:[1,0,1] neg_lo:[0,0,1] neg_hi:[0,0,1]
	v_fma_f16 v24, v24, 2.0, -v44
	v_fma_f16 v47, v49, 2.0, -v27
	;; [unrolled: 1-line block ×4, first 2 shown]
	v_pack_b32_f16 v6, v6, v40
	v_pack_b32_f16 v16, v39, v16
	v_pk_fma_f16 v2, v2, 2.0, v17 op_sel_hi:[1,0,1] neg_lo:[0,0,1] neg_hi:[0,0,1]
	v_pack_b32_f16 v7, v7, v43
	v_pack_b32_f16 v19, v41, v19
	v_pk_fma_f16 v21, v21, 2.0, v18 op_sel_hi:[1,0,1] neg_lo:[0,0,1] neg_hi:[0,0,1]
	v_pk_fma_f16 v4, v4, 2.0, v26 op_sel_hi:[1,0,1] neg_lo:[0,0,1] neg_hi:[0,0,1]
	v_pack_b32_f16 v23, v23, v46
	v_pk_fma_f16 v22, v22, 2.0, v25 op_sel_hi:[1,0,1] neg_lo:[0,0,1] neg_hi:[0,0,1]
	v_pack_b32_f16 v20, v42, v20
	v_pack_b32_f16 v27, v44, v27
	;; [unrolled: 1-line block ×5, first 2 shown]
	ds_store_2addr_b32 v33, v1, v6 offset1:1
	ds_store_2addr_b32 v33, v5, v16 offset0:2 offset1:3
	ds_store_2addr_b32 v35, v2, v7 offset1:1
	ds_store_2addr_b32 v35, v17, v19 offset0:2 offset1:3
	;; [unrolled: 2-line block ×5, first 2 shown]
	global_wb scope:SCOPE_SE
	s_wait_dscnt 0x0
	s_barrier_signal -1
	s_barrier_wait -1
	global_inv scope:SCOPE_SE
	global_load_b96 v[4:6], v34, s[8:9]
	v_lshlrev_b32_e32 v34, 2, v29
	v_lshlrev_b32_e32 v35, 2, v30
	v_and_b32_e32 v7, 15, v0
	v_lshlrev_b32_e32 v33, 2, v11
	v_and_or_b32 v1, 0x1f0, v3, v31
	v_and_or_b32 v25, 0x5f0, v34, v31
	;; [unrolled: 1-line block ×3, first 2 shown]
	v_lshlrev_b32_e32 v36, 2, v32
	v_mul_u32_u24_e32 v21, 3, v7
	v_and_or_b32 v23, 0x3f0, v33, v31
	v_lshl_add_u32 v37, v1, 2, 0
	ds_load_2addr_stride64_b32 v[1:2], v14 offset0:20 offset1:22
	ds_load_2addr_stride64_b32 v[15:16], v14 offset0:32 offset1:34
	;; [unrolled: 1-line block ×4, first 2 shown]
	v_lshl_add_u32 v40, v25, 2, 0
	ds_load_2addr_stride64_b32 v[25:26], v14 offset0:28 offset1:30
	v_lshl_add_u32 v41, v27, 2, 0
	ds_load_2addr_stride64_b32 v[27:28], v14 offset0:8 offset1:10
	v_and_or_b32 v29, 0x9f0, v36, v31
	v_lshlrev_b32_e32 v38, 2, v21
	ds_load_2addr_stride64_b32 v[21:22], v14 offset0:16 offset1:18
	v_lshl_add_u32 v39, v23, 2, 0
	ds_load_2addr_stride64_b32 v[23:24], v14 offset0:36 offset1:38
	v_lshl_add_u32 v42, v29, 2, 0
	ds_load_2addr_stride64_b32 v[29:30], v14 offset1:2
	ds_load_u16 v43, v14 offset:3074
	ds_load_2addr_stride64_b32 v[31:32], v14 offset0:4 offset1:6
	global_wb scope:SCOPE_SE
	s_wait_loadcnt_dscnt 0x0
	s_barrier_signal -1
	s_barrier_wait -1
	global_inv scope:SCOPE_SE
	v_lshrrev_b32_e32 v11, 6, v11
	v_lshrrev_b32_e32 v56, 16, v1
	;; [unrolled: 1-line block ×20, first 2 shown]
	v_mul_u32_u24_e32 v11, 0x280, v11
	v_lshrrev_b32_e32 v61, 16, v4
	v_lshrrev_b32_e32 v63, 16, v5
	;; [unrolled: 1-line block ×3, first 2 shown]
	s_delay_alu instid0(VALU_DEP_3) | instskip(SKIP_1) | instid1(VALU_DEP_4)
	v_mul_f16_e32 v66, v61, v55
	v_mul_f16_e32 v67, v61, v28
	;; [unrolled: 1-line block ×30, first 2 shown]
	v_fma_f16 v28, v4, v28, -v66
	v_fmac_f16_e32 v67, v4, v55
	v_fma_f16 v1, v5, v1, -v68
	v_fmac_f16_e32 v69, v5, v56
	;; [unrolled: 2-line block ×15, first 2 shown]
	v_sub_f16_e32 v1, v29, v1
	v_sub_f16_e32 v6, v58, v69
	;; [unrolled: 1-line block ×20, first 2 shown]
	v_fma_f16 v29, v29, 2.0, -v1
	v_fma_f16 v50, v58, 2.0, -v6
	;; [unrolled: 1-line block ×4, first 2 shown]
	v_sub_f16_e32 v25, v1, v25
	v_add_f16_e32 v24, v6, v24
	v_fma_f16 v30, v30, 2.0, -v2
	v_fma_f16 v52, v59, 2.0, -v26
	;; [unrolled: 1-line block ×16, first 2 shown]
	v_sub_f16_e32 v28, v29, v28
	v_sub_f16_e32 v51, v50, v51
	;; [unrolled: 1-line block ×3, first 2 shown]
	v_add_f16_e32 v15, v26, v15
	v_fma_f16 v1, v1, 2.0, -v25
	v_fma_f16 v6, v6, 2.0, -v24
	v_sub_f16_e32 v17, v30, v17
	v_sub_f16_e32 v53, v52, v53
	;; [unrolled: 1-line block ×3, first 2 shown]
	v_add_f16_e32 v16, v44, v16
	v_sub_f16_e32 v18, v31, v18
	v_sub_f16_e32 v55, v54, v55
	;; [unrolled: 1-line block ×3, first 2 shown]
	v_add_f16_e32 v23, v46, v23
	v_sub_f16_e32 v49, v4, v49
	v_add_f16_e32 v5, v48, v5
	v_sub_f16_e32 v21, v32, v21
	v_sub_f16_e32 v57, v56, v57
	;; [unrolled: 1-line block ×4, first 2 shown]
	v_pack_b32_f16 v24, v25, v24
	v_fma_f16 v25, v29, 2.0, -v28
	v_fma_f16 v29, v50, 2.0, -v51
	;; [unrolled: 1-line block ×4, first 2 shown]
	v_pack_b32_f16 v15, v43, v15
	v_fma_f16 v30, v30, 2.0, -v17
	v_fma_f16 v43, v52, 2.0, -v53
	v_pack_b32_f16 v1, v1, v6
	v_pack_b32_f16 v6, v28, v51
	v_fma_f16 v19, v19, 2.0, -v45
	v_fma_f16 v44, v44, 2.0, -v16
	v_pack_b32_f16 v16, v45, v16
	v_fma_f16 v31, v31, 2.0, -v18
	v_fma_f16 v45, v54, 2.0, -v55
	v_pack_b32_f16 v17, v17, v53
	v_fma_f16 v20, v20, 2.0, -v47
	v_fma_f16 v46, v46, 2.0, -v23
	v_fma_f16 v4, v4, 2.0, -v49
	v_fma_f16 v48, v48, 2.0, -v5
	v_pack_b32_f16 v23, v47, v23
	v_fma_f16 v32, v32, 2.0, -v21
	v_fma_f16 v47, v56, 2.0, -v57
	v_pack_b32_f16 v18, v18, v55
	v_pack_b32_f16 v5, v49, v5
	v_fma_f16 v27, v27, 2.0, -v22
	v_fma_f16 v49, v58, 2.0, -v59
	v_pack_b32_f16 v21, v21, v57
	v_pack_b32_f16 v22, v22, v59
	;; [unrolled: 1-line block ×4, first 2 shown]
	ds_store_2addr_b32 v37, v6, v24 offset0:8 offset1:12
	v_pack_b32_f16 v6, v30, v43
	v_pack_b32_f16 v19, v19, v44
	ds_store_2addr_b32 v39, v17, v15 offset0:8 offset1:12
	v_pack_b32_f16 v15, v31, v45
	v_pack_b32_f16 v20, v20, v46
	;; [unrolled: 1-line block ×3, first 2 shown]
	ds_store_2addr_b32 v40, v18, v16 offset0:8 offset1:12
	v_pack_b32_f16 v16, v32, v47
	ds_store_2addr_b32 v41, v21, v23 offset0:8 offset1:12
	v_pack_b32_f16 v17, v27, v49
	ds_store_2addr_b32 v42, v22, v5 offset0:8 offset1:12
	ds_store_2addr_b32 v37, v25, v1 offset1:4
	ds_store_2addr_b32 v39, v6, v2 offset1:4
	;; [unrolled: 1-line block ×5, first 2 shown]
	global_wb scope:SCOPE_SE
	s_wait_dscnt 0x0
	s_barrier_signal -1
	s_barrier_wait -1
	global_inv scope:SCOPE_SE
	global_load_b96 v[4:6], v38, s[8:9] offset:48
	v_and_b32_e32 v15, 63, v0
	v_and_or_b32 v0, 0x1c0, v3, v7
	v_and_or_b32 v22, 0x3c0, v33, v7
	;; [unrolled: 1-line block ×4, first 2 shown]
	v_mul_u32_u24_e32 v20, 9, v15
	v_lshl_add_u32 v32, v0, 2, 0
	ds_load_2addr_stride64_b32 v[0:1], v14 offset0:32 offset1:34
	ds_load_2addr_stride64_b32 v[2:3], v14 offset0:12 offset1:14
	;; [unrolled: 1-line block ×4, first 2 shown]
	v_lshl_add_u32 v34, v22, 2, 0
	v_lshlrev_b32_e32 v33, 2, v20
	ds_load_2addr_stride64_b32 v[20:21], v14 offset0:36 offset1:38
	ds_load_2addr_stride64_b32 v[22:23], v14 offset0:28 offset1:30
	v_lshl_add_u32 v35, v24, 2, 0
	ds_load_2addr_stride64_b32 v[24:25], v14 offset0:8 offset1:10
	ds_load_2addr_stride64_b32 v[26:27], v14 offset0:20 offset1:22
	v_and_or_b32 v7, 0x9c0, v36, v7
	v_lshl_add_u32 v36, v28, 2, 0
	ds_load_2addr_stride64_b32 v[28:29], v14 offset1:2
	ds_load_2addr_stride64_b32 v[30:31], v14 offset0:4 offset1:6
	global_wb scope:SCOPE_SE
	s_wait_loadcnt_dscnt 0x0
	s_barrier_signal -1
	v_lshl_add_u32 v7, v7, 2, 0
	s_barrier_wait -1
	global_inv scope:SCOPE_SE
	v_lshrrev_b32_e32 v37, 16, v0
	v_lshrrev_b32_e32 v50, 16, v2
	;; [unrolled: 1-line block ×23, first 2 shown]
	s_delay_alu instid0(VALU_DEP_3) | instskip(SKIP_1) | instid1(VALU_DEP_4)
	v_mul_f16_e32 v60, v55, v47
	v_mul_f16_e32 v61, v55, v25
	;; [unrolled: 1-line block ×30, first 2 shown]
	v_fma_f16 v25, v4, v25, -v60
	v_fmac_f16_e32 v61, v4, v47
	v_fma_f16 v26, v5, v26, -v62
	v_fmac_f16_e32 v63, v5, v48
	;; [unrolled: 2-line block ×15, first 2 shown]
	v_sub_f16_e32 v6, v28, v26
	v_sub_f16_e32 v21, v52, v63
	;; [unrolled: 1-line block ×20, first 2 shown]
	v_fma_f16 v28, v28, 2.0, -v6
	v_fma_f16 v44, v52, 2.0, -v21
	v_fma_f16 v25, v25, 2.0, -v22
	v_fma_f16 v45, v61, 2.0, -v23
	v_sub_f16_e32 v23, v6, v23
	v_add_f16_e32 v22, v21, v22
	v_fma_f16 v29, v29, 2.0, -v26
	v_fma_f16 v46, v53, 2.0, -v27
	;; [unrolled: 1-line block ×16, first 2 shown]
	v_sub_f16_e32 v25, v28, v25
	v_sub_f16_e32 v45, v44, v45
	;; [unrolled: 1-line block ×3, first 2 shown]
	v_add_f16_e32 v0, v27, v0
	v_fma_f16 v6, v6, 2.0, -v23
	v_fma_f16 v21, v21, 2.0, -v22
	v_sub_f16_e32 v2, v29, v2
	v_sub_f16_e32 v47, v46, v47
	;; [unrolled: 1-line block ×3, first 2 shown]
	v_add_f16_e32 v1, v38, v1
	v_sub_f16_e32 v3, v30, v3
	v_sub_f16_e32 v49, v48, v49
	;; [unrolled: 1-line block ×3, first 2 shown]
	v_add_f16_e32 v20, v40, v20
	v_sub_f16_e32 v43, v4, v43
	v_add_f16_e32 v5, v42, v5
	v_sub_f16_e32 v18, v31, v18
	v_sub_f16_e32 v51, v50, v51
	;; [unrolled: 1-line block ×4, first 2 shown]
	v_pack_b32_f16 v22, v23, v22
	v_fma_f16 v23, v28, 2.0, -v25
	v_fma_f16 v28, v44, 2.0, -v45
	;; [unrolled: 1-line block ×4, first 2 shown]
	v_pack_b32_f16 v0, v37, v0
	v_fma_f16 v29, v29, 2.0, -v2
	v_fma_f16 v37, v46, 2.0, -v47
	v_pack_b32_f16 v6, v6, v21
	v_pack_b32_f16 v21, v25, v45
	v_fma_f16 v16, v16, 2.0, -v39
	v_fma_f16 v38, v38, 2.0, -v1
	v_pack_b32_f16 v1, v39, v1
	v_fma_f16 v30, v30, 2.0, -v3
	v_fma_f16 v39, v48, 2.0, -v49
	;; [unrolled: 3-line block ×3, first 2 shown]
	v_fma_f16 v4, v4, 2.0, -v43
	v_fma_f16 v42, v42, 2.0, -v5
	v_pack_b32_f16 v20, v41, v20
	v_pack_b32_f16 v5, v43, v5
	v_fma_f16 v31, v31, 2.0, -v18
	v_fma_f16 v41, v50, 2.0, -v51
	;; [unrolled: 1-line block ×4, first 2 shown]
	v_pack_b32_f16 v3, v3, v49
	v_pack_b32_f16 v18, v18, v51
	;; [unrolled: 1-line block ×5, first 2 shown]
	ds_store_2addr_b32 v32, v21, v22 offset0:32 offset1:48
	v_pack_b32_f16 v21, v29, v37
	v_pack_b32_f16 v16, v16, v38
	ds_store_2addr_b32 v34, v2, v0 offset0:32 offset1:48
	v_pack_b32_f16 v0, v30, v39
	v_pack_b32_f16 v17, v17, v40
	;; [unrolled: 1-line block ×3, first 2 shown]
	ds_store_2addr_b32 v35, v3, v1 offset0:32 offset1:48
	v_pack_b32_f16 v1, v31, v41
	v_pack_b32_f16 v2, v24, v43
	ds_store_2addr_b32 v36, v18, v20 offset0:32 offset1:48
	ds_store_2addr_b32 v7, v19, v5 offset0:32 offset1:48
	ds_store_2addr_b32 v32, v23, v6 offset1:16
	ds_store_2addr_b32 v34, v21, v25 offset1:16
	ds_store_2addr_b32 v35, v0, v16 offset1:16
	ds_store_2addr_b32 v36, v1, v17 offset1:16
	ds_store_2addr_b32 v7, v2, v4 offset1:16
	global_wb scope:SCOPE_SE
	s_wait_dscnt 0x0
	s_barrier_signal -1
	s_barrier_wait -1
	global_inv scope:SCOPE_SE
	s_clause 0x2
	global_load_b128 v[0:3], v33, s[8:9] offset:240
	global_load_b128 v[4:7], v33, s[8:9] offset:256
	global_load_b32 v16, v33, s[8:9] offset:272
	v_lshrrev_b32_e32 v17, 6, v10
	v_mul_u32_u24_e32 v37, 3, v10
	s_delay_alu instid0(VALU_DEP_2) | instskip(NEXT) | instid1(VALU_DEP_1)
	v_mul_u32_u24_e32 v17, 0x280, v17
	v_or_b32_e32 v38, v17, v15
	ds_load_2addr_stride64_b32 v[17:18], v14 offset1:2
	ds_load_2addr_stride64_b32 v[19:20], v14 offset0:20 offset1:22
	ds_load_2addr_stride64_b32 v[21:22], v14 offset0:24 offset1:26
	;; [unrolled: 1-line block ×9, first 2 shown]
	v_or_b32_e32 v15, v11, v15
	v_lshlrev_b32_e32 v11, 2, v37
	v_lshl_add_u32 v37, v38, 2, 0
	global_wb scope:SCOPE_SE
	s_wait_loadcnt_dscnt 0x0
	s_barrier_signal -1
	v_lshl_add_u32 v15, v15, 2, 0
	s_barrier_wait -1
	global_inv scope:SCOPE_SE
	v_lshrrev_b32_e32 v38, 16, v17
	v_lshrrev_b32_e32 v39, 16, v19
	;; [unrolled: 1-line block ×29, first 2 shown]
	v_mul_f16_e32 v67, v58, v54
	v_mul_f16_e32 v68, v58, v29
	;; [unrolled: 1-line block ×36, first 2 shown]
	v_fma_f16 v29, v0, v29, -v67
	v_fmac_f16_e32 v68, v0, v54
	v_fma_f16 v31, v1, v31, -v69
	v_fmac_f16_e32 v70, v1, v55
	;; [unrolled: 2-line block ×18, first 2 shown]
	v_add_f16_e32 v16, v17, v31
	v_sub_f16_e32 v22, v70, v82
	v_sub_f16_e32 v34, v35, v31
	;; [unrolled: 1-line block ×3, first 2 shown]
	v_add_f16_e32 v39, v38, v70
	v_sub_f16_e32 v42, v70, v74
	v_add_f16_e32 v45, v70, v82
	v_sub_f16_e32 v46, v74, v70
	v_sub_f16_e32 v47, v78, v82
	v_add_f16_e32 v48, v29, v33
	v_add_f16_e32 v49, v19, v23
	v_sub_f16_e32 v52, v33, v19
	v_sub_f16_e32 v53, v27, v23
	v_add_f16_e32 v57, v68, v72
	v_add_f16_e32 v67, v76, v80
	v_sub_f16_e32 v70, v72, v76
	v_sub_f16_e32 v71, v84, v80
	;; [unrolled: 1-line block ×5, first 2 shown]
	v_add_f16_e32 v54, v33, v27
	v_sub_f16_e32 v55, v19, v33
	v_sub_f16_e32 v56, v23, v27
	v_add_f16_e32 v73, v72, v84
	v_sub_f16_e32 v72, v76, v72
	v_sub_f16_e32 v75, v80, v84
	v_add_f16_e32 v77, v18, v0
	v_add_f16_e32 v20, v35, v21
	v_sub_f16_e32 v24, v74, v78
	v_sub_f16_e32 v26, v31, v35
	;; [unrolled: 1-line block ×3, first 2 shown]
	v_add_f16_e32 v32, v31, v25
	v_add_f16_e32 v40, v74, v78
	v_sub_f16_e32 v41, v35, v21
	v_sub_f16_e32 v43, v82, v78
	v_sub_f16_e32 v51, v76, v80
	v_sub_f16_e32 v33, v33, v27
	v_sub_f16_e32 v69, v19, v23
	v_sub_f16_e32 v88, v2, v0
	v_sub_f16_e32 v89, v4, v6
	v_add_f16_e32 v90, v44, v59
	v_add_f16_e32 v91, v61, v63
	;; [unrolled: 1-line block ×9, first 2 shown]
	v_sub_f16_e32 v47, v1, v3
	v_add_f16_e32 v19, v48, v19
	v_sub_f16_e32 v48, v7, v5
	v_add_f16_e32 v52, v52, v53
	v_add_f16_e32 v53, v1, v7
	v_fma_f16 v49, -0.5, v49, v29
	v_add_f16_e32 v57, v57, v76
	v_add_f16_e32 v76, v58, v60
	;; [unrolled: 1-line block ×4, first 2 shown]
	v_fma_f16 v67, -0.5, v67, v68
	v_add_f16_e32 v85, v85, v86
	v_add_f16_e32 v86, v60, v66
	;; [unrolled: 1-line block ×3, first 2 shown]
	v_sub_f16_e32 v92, v2, v4
	v_fmac_f16_e32 v29, -0.5, v54
	v_sub_f16_e32 v54, v3, v1
	v_add_f16_e32 v55, v55, v56
	v_sub_f16_e32 v56, v5, v7
	v_fmac_f16_e32 v68, -0.5, v73
	v_add_f16_e32 v72, v72, v75
	v_sub_f16_e32 v75, v60, v62
	v_add_f16_e32 v2, v77, v2
	v_sub_f16_e32 v77, v66, v64
	;; [unrolled: 2-line block ×3, first 2 shown]
	v_sub_f16_e32 v83, v61, v63
	v_sub_f16_e32 v93, v59, v61
	;; [unrolled: 1-line block ×3, first 2 shown]
	v_add_f16_e32 v26, v26, v28
	v_sub_f16_e32 v28, v63, v65
	v_add_f16_e32 v42, v42, v43
	v_sub_f16_e32 v43, v60, v66
	v_fma_f16 v40, -0.5, v40, v38
	v_fmac_f16_e32 v38, -0.5, v45
	v_sub_f16_e32 v45, v62, v64
	v_sub_f16_e32 v1, v1, v7
	;; [unrolled: 1-line block ×3, first 2 shown]
	v_fma_f16 v20, -0.5, v20, v17
	v_fma_f16 v17, -0.5, v32, v17
	v_add_f16_e32 v32, v88, v89
	v_add_f16_e32 v61, v90, v61
	v_fma_f16 v88, -0.5, v91, v44
	v_fmac_f16_e32 v44, -0.5, v35
	v_add_f16_e32 v3, v36, v3
	v_fma_f16 v35, -0.5, v74, v30
	v_add_f16_e32 v36, v47, v48
	v_fmac_f16_e32 v30, -0.5, v53
	v_add_f16_e32 v48, v76, v62
	v_fma_f16 v53, -0.5, v71, v58
	v_fmac_f16_e32 v58, -0.5, v86
	v_add_f16_e32 v19, v19, v23
	v_fmamk_f16 v23, v50, 0x3b9c, v49
	v_fmamk_f16 v74, v33, 0xbb9c, v67
	v_add_f16_e32 v47, v54, v56
	v_add_f16_e32 v54, v75, v77
	v_fmamk_f16 v71, v51, 0xbb9c, v29
	v_fmac_f16_e32 v29, 0x3b9c, v51
	v_fmamk_f16 v75, v69, 0x3b9c, v68
	v_fmac_f16_e32 v68, 0xbb9c, v69
	v_fma_f16 v79, -0.5, v79, v18
	v_fmac_f16_e32 v18, -0.5, v87
	v_fmac_f16_e32 v49, 0xbb9c, v50
	v_fmac_f16_e32 v67, 0x3b9c, v33
	v_sub_f16_e32 v31, v31, v25
	v_sub_f16_e32 v0, v0, v6
	;; [unrolled: 1-line block ×4, first 2 shown]
	v_add_f16_e32 v28, v59, v28
	v_add_f16_e32 v16, v16, v21
	v_fmamk_f16 v21, v22, 0x3b9c, v20
	v_fmac_f16_e32 v20, 0xbb9c, v22
	v_fmamk_f16 v59, v24, 0xbb9c, v17
	v_fmac_f16_e32 v17, 0x3b9c, v24
	v_add_f16_e32 v39, v39, v78
	v_add_f16_e32 v57, v57, v80
	;; [unrolled: 1-line block ×4, first 2 shown]
	v_fmamk_f16 v77, v92, 0x3b9c, v44
	v_fmac_f16_e32 v44, 0xbb9c, v92
	v_add_f16_e32 v3, v3, v5
	v_fmamk_f16 v5, v43, 0x3b9c, v35
	v_fmac_f16_e32 v35, 0xbb9c, v43
	v_fmamk_f16 v78, v45, 0xbb9c, v30
	v_fmac_f16_e32 v30, 0x3b9c, v45
	v_add_f16_e32 v48, v48, v64
	v_fmamk_f16 v64, v1, 0xbb9c, v53
	v_fmac_f16_e32 v53, 0x3b9c, v1
	v_fmamk_f16 v80, v73, 0x3b9c, v58
	v_fmac_f16_e32 v58, 0xbb9c, v73
	v_fmac_f16_e32 v23, 0x38b4, v51
	;; [unrolled: 1-line block ×7, first 2 shown]
	v_fmamk_f16 v76, v83, 0xbb9c, v18
	v_fmac_f16_e32 v18, 0x3b9c, v83
	v_fmac_f16_e32 v49, 0xb8b4, v51
	;; [unrolled: 1-line block ×3, first 2 shown]
	v_sub_f16_e32 v94, v65, v63
	v_add_f16_e32 v56, v60, v87
	v_fmamk_f16 v60, v31, 0xbb9c, v40
	v_fmac_f16_e32 v40, 0x3b9c, v31
	v_fmamk_f16 v63, v0, 0xbb9c, v88
	v_fmac_f16_e32 v88, 0x3b9c, v0
	v_add_f16_e32 v16, v16, v25
	v_fmac_f16_e32 v21, 0x38b4, v24
	v_fmac_f16_e32 v20, 0xb8b4, v24
	v_fmac_f16_e32 v59, 0x38b4, v22
	v_fmac_f16_e32 v17, 0xb8b4, v22
	v_add_f16_e32 v22, v39, v82
	v_add_f16_e32 v19, v19, v27
	;; [unrolled: 1-line block ×5, first 2 shown]
	v_fmac_f16_e32 v77, 0xb8b4, v0
	v_fmac_f16_e32 v44, 0x38b4, v0
	v_add_f16_e32 v0, v3, v7
	v_fmac_f16_e32 v5, 0x38b4, v45
	v_fmac_f16_e32 v35, 0xb8b4, v45
	;; [unrolled: 1-line block ×4, first 2 shown]
	v_add_f16_e32 v3, v48, v66
	v_fmac_f16_e32 v64, 0xb8b4, v73
	v_fmac_f16_e32 v53, 0x38b4, v73
	;; [unrolled: 1-line block ×6, first 2 shown]
	v_fmamk_f16 v62, v41, 0x3b9c, v38
	v_fmac_f16_e32 v38, 0xbb9c, v41
	v_fmac_f16_e32 v71, 0x34f2, v55
	;; [unrolled: 1-line block ×9, first 2 shown]
	v_fmamk_f16 v4, v81, 0x3b9c, v79
	v_fmac_f16_e32 v79, 0xbb9c, v81
	v_fmac_f16_e32 v60, 0xb8b4, v41
	;; [unrolled: 1-line block ×3, first 2 shown]
	v_add_f16_e32 v1, v16, v19
	v_add_f16_e32 v7, v22, v24
	v_sub_f16_e32 v16, v16, v19
	v_sub_f16_e32 v19, v22, v24
	v_fmac_f16_e32 v5, 0x34f2, v36
	v_fmac_f16_e32 v35, 0x34f2, v36
	;; [unrolled: 1-line block ×8, first 2 shown]
	v_add_f16_e32 v22, v2, v0
	v_add_f16_e32 v24, v6, v3
	v_sub_f16_e32 v0, v2, v0
	v_sub_f16_e32 v2, v6, v3
	v_mul_f16_e32 v3, 0x38b4, v74
	v_mul_f16_e32 v27, 0xb8b4, v23
	v_fmac_f16_e32 v62, 0xb8b4, v31
	v_fmac_f16_e32 v38, 0x38b4, v31
	;; [unrolled: 1-line block ×4, first 2 shown]
	v_mul_f16_e32 v6, 0x3b9c, v75
	v_mul_f16_e32 v25, 0x34f2, v29
	;; [unrolled: 1-line block ×4, first 2 shown]
	v_fmac_f16_e32 v21, 0x34f2, v26
	v_fmac_f16_e32 v20, 0x34f2, v26
	;; [unrolled: 1-line block ×4, first 2 shown]
	v_mul_f16_e32 v26, 0x3a79, v49
	v_mul_f16_e32 v32, 0x3a79, v67
	v_add_f16_e32 v89, v93, v94
	v_fmac_f16_e32 v4, 0x38b4, v83
	v_fmac_f16_e32 v79, 0xb8b4, v83
	;; [unrolled: 1-line block ×8, first 2 shown]
	v_mul_f16_e32 v33, 0x38b4, v64
	v_mul_f16_e32 v34, 0x3b9c, v80
	;; [unrolled: 1-line block ×8, first 2 shown]
	v_fmac_f16_e32 v3, 0x3a79, v23
	v_fmac_f16_e32 v27, 0x3a79, v74
	;; [unrolled: 1-line block ×4, first 2 shown]
	v_pack_b32_f16 v1, v1, v7
	v_pack_b32_f16 v7, v16, v19
	;; [unrolled: 1-line block ×4, first 2 shown]
	v_fmac_f16_e32 v6, 0x34f2, v71
	v_fma_f16 v2, v68, 0x3b9c, -v25
	v_fmac_f16_e32 v28, 0x34f2, v75
	v_fma_f16 v22, v29, 0xbb9c, -v31
	v_fma_f16 v19, v67, 0x38b4, -v26
	;; [unrolled: 1-line block ×3, first 2 shown]
	v_fmac_f16_e32 v4, 0x34f2, v85
	v_fmac_f16_e32 v79, 0x34f2, v85
	;; [unrolled: 1-line block ×6, first 2 shown]
	v_fma_f16 v5, v58, 0x3b9c, -v36
	v_fma_f16 v24, v53, 0x38b4, -v39
	v_fmac_f16_e32 v41, 0x3a79, v64
	v_fmac_f16_e32 v42, 0x34f2, v80
	v_fma_f16 v25, v30, 0xbb9c, -v43
	v_fma_f16 v26, v35, 0xb8b4, -v45
	v_add_f16_e32 v29, v21, v3
	v_add_f16_e32 v35, v60, v27
	;; [unrolled: 1-line block ×8, first 2 shown]
	v_sub_f16_e32 v3, v21, v3
	v_sub_f16_e32 v6, v59, v6
	;; [unrolled: 1-line block ×8, first 2 shown]
	v_add_f16_e32 v23, v4, v33
	v_add_f16_e32 v27, v76, v34
	;; [unrolled: 1-line block ×8, first 2 shown]
	v_sub_f16_e32 v4, v4, v33
	v_sub_f16_e32 v33, v76, v34
	;; [unrolled: 1-line block ×8, first 2 shown]
	v_pack_b32_f16 v29, v29, v35
	v_pack_b32_f16 v30, v30, v36
	;; [unrolled: 1-line block ×16, first 2 shown]
	ds_store_2addr_stride64_b32 v37, v1, v29 offset1:1
	ds_store_2addr_stride64_b32 v37, v30, v31 offset0:2 offset1:3
	ds_store_2addr_stride64_b32 v37, v32, v7 offset0:4 offset1:5
	;; [unrolled: 1-line block ×4, first 2 shown]
	ds_store_2addr_stride64_b32 v15, v16, v19 offset1:1
	ds_store_2addr_stride64_b32 v15, v20, v21 offset0:2 offset1:3
	ds_store_2addr_stride64_b32 v15, v22, v0 offset0:4 offset1:5
	;; [unrolled: 1-line block ×4, first 2 shown]
	v_add_nc_u32_e32 v6, 0x1800, v11
	global_wb scope:SCOPE_SE
	s_wait_dscnt 0x0
	s_barrier_signal -1
	s_barrier_wait -1
	global_inv scope:SCOPE_SE
	s_clause 0x4
	global_load_b96 v[0:2], v11, s[8:9] offset:2544
	global_load_b96 v[3:5], v11, s[8:9] offset:4080
	;; [unrolled: 1-line block ×5, first 2 shown]
	ds_load_2addr_stride64_b32 v[6:7], v14 offset1:2
	ds_load_2addr_stride64_b32 v[24:25], v14 offset0:20 offset1:22
	ds_load_2addr_stride64_b32 v[26:27], v14 offset0:32 offset1:34
	ds_load_2addr_stride64_b32 v[28:29], v14 offset0:4 offset1:6
	ds_load_2addr_stride64_b32 v[30:31], v14 offset0:12 offset1:14
	ds_load_2addr_stride64_b32 v[32:33], v14 offset0:24 offset1:26
	ds_load_2addr_stride64_b32 v[34:35], v14 offset0:16 offset1:18
	ds_load_2addr_stride64_b32 v[36:37], v14 offset0:36 offset1:38
	ds_load_2addr_stride64_b32 v[38:39], v14 offset0:8 offset1:10
	ds_load_2addr_stride64_b32 v[40:41], v14 offset0:28 offset1:30
	global_wb scope:SCOPE_SE
	s_wait_loadcnt_dscnt 0x0
	s_barrier_signal -1
	s_barrier_wait -1
	global_inv scope:SCOPE_SE
	v_lshrrev_b32_e32 v11, 16, v6
	v_lshrrev_b32_e32 v43, 16, v25
	v_lshrrev_b32_e32 v44, 16, v26
	v_lshrrev_b32_e32 v58, 16, v24
	v_lshrrev_b32_e32 v60, 16, v30
	v_lshrrev_b32_e32 v46, 16, v31
	v_lshrrev_b32_e32 v47, 16, v32
	v_lshrrev_b32_e32 v48, 16, v27
	v_lshrrev_b32_e32 v57, 16, v39
	v_lshrrev_b32_e32 v59, 16, v41
	v_lshrrev_b32_e32 v50, 16, v34
	v_lshrrev_b32_e32 v51, 16, v33
	v_lshrrev_b32_e32 v52, 16, v36
	v_lshrrev_b32_e32 v54, 16, v35
	v_lshrrev_b32_e32 v55, 16, v40
	v_lshrrev_b32_e32 v56, 16, v37
	v_lshrrev_b32_e32 v42, 16, v7
	v_lshrrev_b32_e32 v45, 16, v28
	v_lshrrev_b32_e32 v49, 16, v29
	v_lshrrev_b32_e32 v53, 16, v38
	v_lshrrev_b32_e32 v61, 16, v0
	v_lshrrev_b32_e32 v62, 16, v1
	v_lshrrev_b32_e32 v63, 16, v2
	v_lshrrev_b32_e32 v64, 16, v3
	v_lshrrev_b32_e32 v65, 16, v4
	v_lshrrev_b32_e32 v66, 16, v5
	v_lshrrev_b32_e32 v67, 16, v15
	v_lshrrev_b32_e32 v68, 16, v16
	v_lshrrev_b32_e32 v69, 16, v17
	v_lshrrev_b32_e32 v70, 16, v18
	v_lshrrev_b32_e32 v71, 16, v19
	v_lshrrev_b32_e32 v72, 16, v20
	v_lshrrev_b32_e32 v73, 16, v21
	v_lshrrev_b32_e32 v74, 16, v22
	v_lshrrev_b32_e32 v75, 16, v23
	v_mul_f16_e32 v76, v61, v57
	v_mul_f16_e32 v61, v61, v39
	;; [unrolled: 1-line block ×30, first 2 shown]
	v_fma_f16 v39, v0, v39, -v76
	v_fmac_f16_e32 v61, v0, v57
	v_fma_f16 v0, v1, v24, -v77
	v_fmac_f16_e32 v62, v1, v58
	;; [unrolled: 2-line block ×15, first 2 shown]
	v_sub_f16_e32 v0, v6, v0
	v_sub_f16_e32 v23, v11, v62
	;; [unrolled: 1-line block ×20, first 2 shown]
	v_fma_f16 v6, v6, 2.0, -v0
	v_fma_f16 v11, v11, 2.0, -v23
	;; [unrolled: 1-line block ×8, first 2 shown]
	v_sub_f16_e32 v24, v0, v24
	v_add_f16_e32 v1, v23, v1
	v_sub_f16_e32 v26, v3, v26
	v_add_f16_e32 v4, v25, v4
	v_fma_f16 v28, v28, 2.0, -v15
	v_fma_f16 v40, v45, 2.0, -v27
	;; [unrolled: 1-line block ×4, first 2 shown]
	v_sub_f16_e32 v30, v15, v30
	v_add_f16_e32 v16, v27, v16
	v_fma_f16 v29, v29, 2.0, -v18
	v_fma_f16 v42, v49, 2.0, -v31
	;; [unrolled: 1-line block ×8, first 2 shown]
	v_sub_f16_e32 v32, v18, v32
	v_add_f16_e32 v19, v31, v19
	v_sub_f16_e32 v34, v21, v34
	v_add_f16_e32 v22, v33, v22
	v_sub_f16_e32 v35, v6, v35
	v_sub_f16_e32 v36, v11, v36
	;; [unrolled: 1-line block ×4, first 2 shown]
	v_fma_f16 v0, v0, 2.0, -v24
	v_fma_f16 v23, v23, 2.0, -v1
	;; [unrolled: 1-line block ×4, first 2 shown]
	v_sub_f16_e32 v5, v28, v5
	v_sub_f16_e32 v41, v40, v41
	v_fma_f16 v15, v15, 2.0, -v30
	v_fma_f16 v27, v27, 2.0, -v16
	v_sub_f16_e32 v17, v29, v17
	v_sub_f16_e32 v43, v42, v43
	;; [unrolled: 1-line block ×4, first 2 shown]
	v_pack_b32_f16 v4, v26, v4
	v_pack_b32_f16 v16, v30, v16
	v_fma_f16 v18, v18, 2.0, -v32
	v_fma_f16 v31, v31, 2.0, -v19
	;; [unrolled: 1-line block ×4, first 2 shown]
	v_pack_b32_f16 v1, v24, v1
	v_fma_f16 v6, v6, 2.0, -v35
	v_fma_f16 v11, v11, 2.0, -v36
	;; [unrolled: 1-line block ×8, first 2 shown]
	v_pack_b32_f16 v0, v0, v23
	v_pack_b32_f16 v23, v35, v36
	;; [unrolled: 1-line block ×7, first 2 shown]
	v_fma_f16 v32, v38, 2.0, -v20
	v_fma_f16 v34, v44, 2.0, -v45
	v_pack_b32_f16 v5, v5, v41
	ds_store_2addr_stride64_b32 v14, v4, v16 offset0:32 offset1:34
	v_pack_b32_f16 v16, v17, v43
	v_pack_b32_f16 v4, v18, v31
	;; [unrolled: 1-line block ×6, first 2 shown]
	ds_store_2addr_stride64_b32 v14, v23, v2 offset0:20 offset1:22
	v_pack_b32_f16 v2, v26, v28
	ds_store_2addr_stride64_b32 v14, v3, v15 offset0:12 offset1:14
	v_pack_b32_f16 v3, v29, v30
	;; [unrolled: 2-line block ×3, first 2 shown]
	ds_store_2addr_stride64_b32 v14, v19, v22 offset0:36 offset1:38
	ds_store_2addr_stride64_b32 v14, v4, v17 offset0:16 offset1:18
	;; [unrolled: 1-line block ×3, first 2 shown]
	ds_store_2addr_stride64_b32 v14, v6, v7 offset1:2
	ds_store_2addr_stride64_b32 v14, v2, v3 offset0:4 offset1:6
	ds_store_2addr_stride64_b32 v14, v5, v0 offset0:8 offset1:10
	global_wb scope:SCOPE_SE
	s_wait_dscnt 0x0
	s_barrier_signal -1
	s_barrier_wait -1
	global_inv scope:SCOPE_SE
	s_and_saveexec_b32 s0, vcc_lo
	s_cbranch_execz .LBB0_21
; %bb.20:
	v_mul_lo_u32 v2, s3, v12
	v_mul_lo_u32 v3, s2, v13
	v_mad_co_u64_u32 v[0:1], null, s2, v12, 0
	v_dual_mov_b32 v11, 0 :: v_dual_add_nc_u32 v4, 0x80, v10
	v_add_nc_u32_e32 v6, 0x100, v10
	v_lshl_add_u32 v34, v10, 2, 0
	s_delay_alu instid0(VALU_DEP_3)
	v_dual_mov_b32 v5, v11 :: v_dual_add_nc_u32 v20, 0x300, v10
	v_add3_u32 v1, v1, v3, v2
	v_lshlrev_b64_e32 v[2:3], 2, v[8:9]
	v_lshlrev_b64_e32 v[12:13], 2, v[10:11]
	v_mov_b32_e32 v7, v11
	ds_load_2addr_stride64_b32 v[8:9], v34 offset1:2
	v_lshlrev_b64_e32 v[0:1], 2, v[0:1]
	v_mov_b32_e32 v17, v11
	ds_load_2addr_stride64_b32 v[18:19], v34 offset0:8 offset1:10
	v_dual_mov_b32 v21, v11 :: v_dual_add_nc_u32 v22, 0x380, v10
	ds_load_2addr_stride64_b32 v[24:25], v34 offset0:12 offset1:14
	v_add_co_u32 v14, vcc_lo, s6, v0
	s_wait_alu 0xfffd
	v_add_co_ci_u32_e32 v15, vcc_lo, s7, v1, vcc_lo
	v_lshlrev_b64_e32 v[0:1], 2, v[4:5]
	s_delay_alu instid0(VALU_DEP_3) | instskip(SKIP_1) | instid1(VALU_DEP_3)
	v_add_co_u32 v36, vcc_lo, v14, v2
	s_wait_alu 0xfffd
	v_add_co_ci_u32_e32 v37, vcc_lo, v15, v3, vcc_lo
	v_dual_mov_b32 v15, v11 :: v_dual_add_nc_u32 v16, 0x280, v10
	s_delay_alu instid0(VALU_DEP_3) | instskip(SKIP_1) | instid1(VALU_DEP_3)
	v_add_co_u32 v4, vcc_lo, v36, v12
	s_wait_alu 0xfffd
	v_add_co_ci_u32_e32 v5, vcc_lo, v37, v13, vcc_lo
	v_dual_mov_b32 v13, v11 :: v_dual_add_nc_u32 v12, 0x180, v10
	v_add_nc_u32_e32 v14, 0x200, v10
	v_lshlrev_b64_e32 v[2:3], 2, v[6:7]
	v_add_co_u32 v0, vcc_lo, v36, v0
	s_delay_alu instid0(VALU_DEP_4)
	v_lshlrev_b64_e32 v[12:13], 2, v[12:13]
	s_wait_alu 0xfffd
	v_add_co_ci_u32_e32 v1, vcc_lo, v37, v1, vcc_lo
	ds_load_2addr_stride64_b32 v[6:7], v34 offset0:4 offset1:6
	v_add_co_u32 v2, vcc_lo, v36, v2
	v_lshlrev_b64_e32 v[14:15], 2, v[14:15]
	s_wait_alu 0xfffd
	v_add_co_ci_u32_e32 v3, vcc_lo, v37, v3, vcc_lo
	v_add_co_u32 v12, vcc_lo, v36, v12
	v_lshlrev_b64_e32 v[16:17], 2, v[16:17]
	v_dual_mov_b32 v23, v11 :: v_dual_add_nc_u32 v26, 0x400, v10
	s_wait_alu 0xfffd
	v_add_co_ci_u32_e32 v13, vcc_lo, v37, v13, vcc_lo
	v_add_co_u32 v14, vcc_lo, v36, v14
	v_lshlrev_b64_e32 v[20:21], 2, v[20:21]
	s_wait_alu 0xfffd
	v_add_co_ci_u32_e32 v15, vcc_lo, v37, v15, vcc_lo
	v_add_co_u32 v16, vcc_lo, v36, v16
	v_lshlrev_b64_e32 v[22:23], 2, v[22:23]
	s_wait_alu 0xfffd
	v_add_co_ci_u32_e32 v17, vcc_lo, v37, v17, vcc_lo
	v_add_co_u32 v20, vcc_lo, v36, v20
	v_dual_mov_b32 v27, v11 :: v_dual_add_nc_u32 v28, 0x480, v10
	s_wait_alu 0xfffd
	v_add_co_ci_u32_e32 v21, vcc_lo, v37, v21, vcc_lo
	v_add_co_u32 v22, vcc_lo, v36, v22
	v_mov_b32_e32 v29, v11
	s_wait_alu 0xfffd
	v_add_co_ci_u32_e32 v23, vcc_lo, v37, v23, vcc_lo
	s_wait_dscnt 0x3
	s_clause 0x1
	global_store_b32 v[4:5], v8, off
	global_store_b32 v[0:1], v9, off
	s_wait_dscnt 0x0
	s_clause 0x5
	global_store_b32 v[2:3], v6, off
	global_store_b32 v[12:13], v7, off
	;; [unrolled: 1-line block ×6, first 2 shown]
	v_add_nc_u32_e32 v6, 0x500, v10
	v_lshlrev_b64_e32 v[0:1], 2, v[26:27]
	v_dual_mov_b32 v7, v11 :: v_dual_add_nc_u32 v12, 0x580, v10
	v_lshlrev_b64_e32 v[4:5], 2, v[28:29]
	v_dual_mov_b32 v13, v11 :: v_dual_add_nc_u32 v14, 0x600, v10
	s_delay_alu instid0(VALU_DEP_4) | instskip(NEXT) | instid1(VALU_DEP_4)
	v_add_co_u32 v0, vcc_lo, v36, v0
	v_lshlrev_b64_e32 v[6:7], 2, v[6:7]
	v_dual_mov_b32 v15, v11 :: v_dual_add_nc_u32 v16, 0x680, v10
	s_wait_alu 0xfffd
	v_add_co_ci_u32_e32 v1, vcc_lo, v37, v1, vcc_lo
	v_add_co_u32 v4, vcc_lo, v36, v4
	v_lshlrev_b64_e32 v[12:13], 2, v[12:13]
	v_dual_mov_b32 v17, v11 :: v_dual_add_nc_u32 v20, 0x700, v10
	s_wait_alu 0xfffd
	v_add_co_ci_u32_e32 v5, vcc_lo, v37, v5, vcc_lo
	;; [unrolled: 5-line block ×4, first 2 shown]
	v_add_co_u32 v14, vcc_lo, v36, v14
	v_lshlrev_b64_e32 v[20:21], 2, v[20:21]
	s_wait_alu 0xfffd
	v_add_co_ci_u32_e32 v15, vcc_lo, v37, v15, vcc_lo
	ds_load_2addr_stride64_b32 v[2:3], v34 offset0:16 offset1:18
	v_add_co_u32 v16, vcc_lo, v36, v16
	v_lshlrev_b64_e32 v[24:25], 2, v[24:25]
	v_dual_mov_b32 v33, v11 :: v_dual_add_nc_u32 v28, 0x880, v10
	ds_load_2addr_stride64_b32 v[8:9], v34 offset0:20 offset1:22
	s_wait_alu 0xfffd
	v_add_co_ci_u32_e32 v17, vcc_lo, v37, v17, vcc_lo
	v_add_co_u32 v20, vcc_lo, v36, v20
	v_lshlrev_b64_e32 v[26:27], 2, v[26:27]
	ds_load_2addr_stride64_b32 v[18:19], v34 offset0:24 offset1:26
	v_add_nc_u32_e32 v32, 0x900, v10
	s_wait_alu 0xfffd
	v_add_co_ci_u32_e32 v21, vcc_lo, v37, v21, vcc_lo
	ds_load_2addr_stride64_b32 v[22:23], v34 offset0:28 offset1:30
	v_add_co_u32 v24, vcc_lo, v36, v24
	v_lshlrev_b64_e32 v[28:29], 2, v[28:29]
	v_add_nc_u32_e32 v10, 0x980, v10
	s_wait_alu 0xfffd
	v_add_co_ci_u32_e32 v25, vcc_lo, v37, v25, vcc_lo
	ds_load_2addr_stride64_b32 v[30:31], v34 offset0:32 offset1:34
	v_add_co_u32 v26, vcc_lo, v36, v26
	v_lshlrev_b64_e32 v[32:33], 2, v[32:33]
	ds_load_2addr_stride64_b32 v[34:35], v34 offset0:36 offset1:38
	s_wait_alu 0xfffd
	v_add_co_ci_u32_e32 v27, vcc_lo, v37, v27, vcc_lo
	v_add_co_u32 v28, vcc_lo, v36, v28
	v_lshlrev_b64_e32 v[10:11], 2, v[10:11]
	s_wait_alu 0xfffd
	v_add_co_ci_u32_e32 v29, vcc_lo, v37, v29, vcc_lo
	v_add_co_u32 v32, vcc_lo, v36, v32
	s_wait_alu 0xfffd
	v_add_co_ci_u32_e32 v33, vcc_lo, v37, v33, vcc_lo
	v_add_co_u32 v10, vcc_lo, v36, v10
	s_wait_alu 0xfffd
	v_add_co_ci_u32_e32 v11, vcc_lo, v37, v11, vcc_lo
	s_wait_dscnt 0x5
	s_clause 0x1
	global_store_b32 v[0:1], v2, off
	global_store_b32 v[4:5], v3, off
	s_wait_dscnt 0x4
	s_clause 0x1
	global_store_b32 v[6:7], v8, off
	global_store_b32 v[12:13], v9, off
	;; [unrolled: 4-line block ×6, first 2 shown]
.LBB0_21:
	s_nop 0
	s_sendmsg sendmsg(MSG_DEALLOC_VGPRS)
	s_endpgm
	.section	.rodata,"a",@progbits
	.p2align	6, 0x0
	.amdhsa_kernel fft_rtc_fwd_len2560_factors_4_4_4_10_4_wgs_128_tpt_128_halfLds_half_op_CI_CI_unitstride_sbrr_C2R_dirReg
		.amdhsa_group_segment_fixed_size 0
		.amdhsa_private_segment_fixed_size 0
		.amdhsa_kernarg_size 104
		.amdhsa_user_sgpr_count 2
		.amdhsa_user_sgpr_dispatch_ptr 0
		.amdhsa_user_sgpr_queue_ptr 0
		.amdhsa_user_sgpr_kernarg_segment_ptr 1
		.amdhsa_user_sgpr_dispatch_id 0
		.amdhsa_user_sgpr_private_segment_size 0
		.amdhsa_wavefront_size32 1
		.amdhsa_uses_dynamic_stack 0
		.amdhsa_enable_private_segment 0
		.amdhsa_system_sgpr_workgroup_id_x 1
		.amdhsa_system_sgpr_workgroup_id_y 0
		.amdhsa_system_sgpr_workgroup_id_z 0
		.amdhsa_system_sgpr_workgroup_info 0
		.amdhsa_system_vgpr_workitem_id 0
		.amdhsa_next_free_vgpr 95
		.amdhsa_next_free_sgpr 39
		.amdhsa_reserve_vcc 1
		.amdhsa_float_round_mode_32 0
		.amdhsa_float_round_mode_16_64 0
		.amdhsa_float_denorm_mode_32 3
		.amdhsa_float_denorm_mode_16_64 3
		.amdhsa_fp16_overflow 0
		.amdhsa_workgroup_processor_mode 1
		.amdhsa_memory_ordered 1
		.amdhsa_forward_progress 0
		.amdhsa_round_robin_scheduling 0
		.amdhsa_exception_fp_ieee_invalid_op 0
		.amdhsa_exception_fp_denorm_src 0
		.amdhsa_exception_fp_ieee_div_zero 0
		.amdhsa_exception_fp_ieee_overflow 0
		.amdhsa_exception_fp_ieee_underflow 0
		.amdhsa_exception_fp_ieee_inexact 0
		.amdhsa_exception_int_div_zero 0
	.end_amdhsa_kernel
	.text
.Lfunc_end0:
	.size	fft_rtc_fwd_len2560_factors_4_4_4_10_4_wgs_128_tpt_128_halfLds_half_op_CI_CI_unitstride_sbrr_C2R_dirReg, .Lfunc_end0-fft_rtc_fwd_len2560_factors_4_4_4_10_4_wgs_128_tpt_128_halfLds_half_op_CI_CI_unitstride_sbrr_C2R_dirReg
                                        ; -- End function
	.section	.AMDGPU.csdata,"",@progbits
; Kernel info:
; codeLenInByte = 12916
; NumSgprs: 41
; NumVgprs: 95
; ScratchSize: 0
; MemoryBound: 0
; FloatMode: 240
; IeeeMode: 1
; LDSByteSize: 0 bytes/workgroup (compile time only)
; SGPRBlocks: 5
; VGPRBlocks: 11
; NumSGPRsForWavesPerEU: 41
; NumVGPRsForWavesPerEU: 95
; Occupancy: 16
; WaveLimiterHint : 1
; COMPUTE_PGM_RSRC2:SCRATCH_EN: 0
; COMPUTE_PGM_RSRC2:USER_SGPR: 2
; COMPUTE_PGM_RSRC2:TRAP_HANDLER: 0
; COMPUTE_PGM_RSRC2:TGID_X_EN: 1
; COMPUTE_PGM_RSRC2:TGID_Y_EN: 0
; COMPUTE_PGM_RSRC2:TGID_Z_EN: 0
; COMPUTE_PGM_RSRC2:TIDIG_COMP_CNT: 0
	.text
	.p2alignl 7, 3214868480
	.fill 96, 4, 3214868480
	.type	__hip_cuid_45fdbec6cedf8aa1,@object ; @__hip_cuid_45fdbec6cedf8aa1
	.section	.bss,"aw",@nobits
	.globl	__hip_cuid_45fdbec6cedf8aa1
__hip_cuid_45fdbec6cedf8aa1:
	.byte	0                               ; 0x0
	.size	__hip_cuid_45fdbec6cedf8aa1, 1

	.ident	"AMD clang version 19.0.0git (https://github.com/RadeonOpenCompute/llvm-project roc-6.4.0 25133 c7fe45cf4b819c5991fe208aaa96edf142730f1d)"
	.section	".note.GNU-stack","",@progbits
	.addrsig
	.addrsig_sym __hip_cuid_45fdbec6cedf8aa1
	.amdgpu_metadata
---
amdhsa.kernels:
  - .args:
      - .actual_access:  read_only
        .address_space:  global
        .offset:         0
        .size:           8
        .value_kind:     global_buffer
      - .offset:         8
        .size:           8
        .value_kind:     by_value
      - .actual_access:  read_only
        .address_space:  global
        .offset:         16
        .size:           8
        .value_kind:     global_buffer
      - .actual_access:  read_only
        .address_space:  global
        .offset:         24
        .size:           8
        .value_kind:     global_buffer
      - .actual_access:  read_only
        .address_space:  global
        .offset:         32
        .size:           8
        .value_kind:     global_buffer
      - .offset:         40
        .size:           8
        .value_kind:     by_value
      - .actual_access:  read_only
        .address_space:  global
        .offset:         48
        .size:           8
        .value_kind:     global_buffer
      - .actual_access:  read_only
        .address_space:  global
        .offset:         56
        .size:           8
        .value_kind:     global_buffer
      - .offset:         64
        .size:           4
        .value_kind:     by_value
      - .actual_access:  read_only
        .address_space:  global
        .offset:         72
        .size:           8
        .value_kind:     global_buffer
      - .actual_access:  read_only
        .address_space:  global
        .offset:         80
        .size:           8
        .value_kind:     global_buffer
      - .actual_access:  read_only
        .address_space:  global
        .offset:         88
        .size:           8
        .value_kind:     global_buffer
      - .actual_access:  write_only
        .address_space:  global
        .offset:         96
        .size:           8
        .value_kind:     global_buffer
    .group_segment_fixed_size: 0
    .kernarg_segment_align: 8
    .kernarg_segment_size: 104
    .language:       OpenCL C
    .language_version:
      - 2
      - 0
    .max_flat_workgroup_size: 128
    .name:           fft_rtc_fwd_len2560_factors_4_4_4_10_4_wgs_128_tpt_128_halfLds_half_op_CI_CI_unitstride_sbrr_C2R_dirReg
    .private_segment_fixed_size: 0
    .sgpr_count:     41
    .sgpr_spill_count: 0
    .symbol:         fft_rtc_fwd_len2560_factors_4_4_4_10_4_wgs_128_tpt_128_halfLds_half_op_CI_CI_unitstride_sbrr_C2R_dirReg.kd
    .uniform_work_group_size: 1
    .uses_dynamic_stack: false
    .vgpr_count:     95
    .vgpr_spill_count: 0
    .wavefront_size: 32
    .workgroup_processor_mode: 1
amdhsa.target:   amdgcn-amd-amdhsa--gfx1201
amdhsa.version:
  - 1
  - 2
...

	.end_amdgpu_metadata
